;; amdgpu-corpus repo=ROCm/rocFFT kind=compiled arch=gfx1030 opt=O3
	.text
	.amdgcn_target "amdgcn-amd-amdhsa--gfx1030"
	.amdhsa_code_object_version 6
	.protected	bluestein_single_back_len1650_dim1_half_op_CI_CI ; -- Begin function bluestein_single_back_len1650_dim1_half_op_CI_CI
	.globl	bluestein_single_back_len1650_dim1_half_op_CI_CI
	.p2align	8
	.type	bluestein_single_back_len1650_dim1_half_op_CI_CI,@function
bluestein_single_back_len1650_dim1_half_op_CI_CI: ; @bluestein_single_back_len1650_dim1_half_op_CI_CI
; %bb.0:
	s_load_dwordx4 s[12:15], s[4:5], 0x28
	v_mul_u32_u24_e32 v1, 0x254, v0
	v_mov_b32_e32 v31, 0
	s_mov_b32 s0, exec_lo
	v_lshrrev_b32_e32 v1, 16, v1
	v_add_nc_u32_e32 v30, s6, v1
	s_waitcnt lgkmcnt(0)
	v_cmpx_gt_u64_e64 s[12:13], v[30:31]
	s_cbranch_execz .LBB0_23
; %bb.1:
	s_clause 0x1
	s_load_dwordx4 s[8:11], s[4:5], 0x18
	s_load_dwordx2 s[6:7], s[4:5], 0x0
	v_mul_lo_u16 v1, 0x6e, v1
	v_sub_nc_u16 v7, v0, v1
	v_and_b32_e32 v73, 0xffff, v7
	v_lshlrev_b32_e32 v63, 2, v73
	s_waitcnt lgkmcnt(0)
	s_load_dwordx4 s[0:3], s[8:9], 0x0
	s_clause 0x3
	global_load_dword v75, v63, s[6:7]
	global_load_dword v74, v63, s[6:7] offset:600
	global_load_dword v72, v63, s[6:7] offset:1200
	;; [unrolled: 1-line block ×3, first 2 shown]
	s_waitcnt lgkmcnt(0)
	v_mad_u64_u32 v[0:1], null, s2, v30, 0
	v_mad_u64_u32 v[2:3], null, s0, v73, 0
	v_add_co_u32 v28, s2, s6, v63
	v_add_co_ci_u32_e64 v29, null, s7, 0, s2
	s_mul_hi_u32 s6, s0, 0x96
	v_add_co_u32 v26, vcc_lo, 0x800, v28
	v_mad_u64_u32 v[4:5], null, s3, v30, v[1:2]
	v_add_co_ci_u32_e32 v27, vcc_lo, 0, v29, vcc_lo
	s_mul_i32 s3, s1, 0x96
	s_mul_i32 s2, s0, 0x96
	s_add_i32 s3, s6, s3
	s_load_dwordx2 s[6:7], s[4:5], 0x38
	v_mad_u64_u32 v[5:6], null, s1, v73, v[3:4]
	v_mov_b32_e32 v1, v4
	s_lshl_b64 s[2:3], s[2:3], 2
	v_lshlrev_b64 v[0:1], 2, v[0:1]
	v_mov_b32_e32 v3, v5
	v_add_co_u32 v0, vcc_lo, s14, v0
	v_lshlrev_b64 v[2:3], 2, v[2:3]
	v_add_co_ci_u32_e32 v1, vcc_lo, s15, v1, vcc_lo
	v_add_co_u32 v0, vcc_lo, v0, v2
	v_add_co_ci_u32_e32 v1, vcc_lo, v1, v3, vcc_lo
	v_add_co_u32 v2, vcc_lo, v0, s2
	v_add_co_ci_u32_e32 v3, vcc_lo, s3, v1, vcc_lo
	s_clause 0x1
	global_load_dword v4, v[0:1], off
	global_load_dword v5, v[2:3], off
	v_add_co_u32 v0, vcc_lo, v2, s2
	v_add_co_ci_u32_e32 v1, vcc_lo, s3, v3, vcc_lo
	v_add_co_u32 v2, vcc_lo, v0, s2
	v_add_co_ci_u32_e32 v3, vcc_lo, s3, v1, vcc_lo
	s_clause 0x1
	global_load_dword v6, v[0:1], off
	global_load_dword v8, v[2:3], off
	v_add_co_u32 v0, vcc_lo, v2, s2
	v_add_co_ci_u32_e32 v1, vcc_lo, s3, v3, vcc_lo
	v_add_co_u32 v2, vcc_lo, v0, s2
	v_add_co_ci_u32_e32 v3, vcc_lo, s3, v1, vcc_lo
	v_add_co_u32 v24, vcc_lo, 0x1000, v28
	global_load_dword v70, v[26:27], off offset:352
	global_load_dword v9, v[0:1], off
	global_load_dword v10, v[2:3], off
	v_add_co_ci_u32_e32 v25, vcc_lo, 0, v29, vcc_lo
	v_add_co_u32 v0, vcc_lo, v2, s2
	v_add_co_ci_u32_e32 v1, vcc_lo, s3, v3, vcc_lo
	s_clause 0x2
	global_load_dword v69, v[26:27], off offset:952
	global_load_dword v68, v[26:27], off offset:1552
	;; [unrolled: 1-line block ×3, first 2 shown]
	v_add_co_u32 v2, vcc_lo, v0, s2
	v_add_co_ci_u32_e32 v3, vcc_lo, s3, v1, vcc_lo
	global_load_dword v11, v[0:1], off
	v_add_co_u32 v0, vcc_lo, v2, s2
	v_add_co_ci_u32_e32 v1, vcc_lo, s3, v3, vcc_lo
	global_load_dword v12, v[2:3], off
	;; [unrolled: 3-line block ×3, first 2 shown]
	v_add_co_u32 v0, vcc_lo, v2, s2
	v_add_co_ci_u32_e32 v1, vcc_lo, s3, v3, vcc_lo
	global_load_dword v66, v[24:25], off offset:704
	global_load_dword v14, v[2:3], off
	global_load_dword v15, v[0:1], off
	s_clause 0x1
	global_load_dword v65, v[24:25], off offset:1304
	global_load_dword v64, v[24:25], off offset:1904
	v_add_nc_u32_e32 v2, 0x400, v63
	s_load_dwordx4 s[8:11], s[10:11], 0x0
	v_add_nc_u32_e32 v3, 0x800, v63
	v_cmp_gt_u16_e32 vcc_lo, 40, v7
	s_waitcnt vmcnt(17)
	v_lshrrev_b32_e32 v16, 16, v4
	v_mul_f16_sdwa v17, v75, v4 dst_sel:DWORD dst_unused:UNUSED_PAD src0_sel:WORD_1 src1_sel:DWORD
	s_waitcnt vmcnt(16)
	v_lshrrev_b32_e32 v19, 16, v5
	v_mul_f16_sdwa v20, v74, v5 dst_sel:DWORD dst_unused:UNUSED_PAD src0_sel:WORD_1 src1_sel:DWORD
	v_mul_f16_sdwa v18, v75, v16 dst_sel:DWORD dst_unused:UNUSED_PAD src0_sel:WORD_1 src1_sel:DWORD
	v_fma_f16 v16, v75, v16, -v17
	v_fmac_f16_e32 v18, v75, v4
	v_mul_f16_sdwa v4, v74, v19 dst_sel:DWORD dst_unused:UNUSED_PAD src0_sel:WORD_1 src1_sel:DWORD
	v_fma_f16 v19, v74, v19, -v20
	s_waitcnt vmcnt(15)
	v_lshrrev_b32_e32 v17, 16, v6
	v_mul_f16_sdwa v20, v72, v6 dst_sel:DWORD dst_unused:UNUSED_PAD src0_sel:WORD_1 src1_sel:DWORD
	v_pack_b32_f16 v16, v18, v16
	v_fmac_f16_e32 v4, v74, v5
	s_waitcnt vmcnt(14)
	v_lshrrev_b32_e32 v18, 16, v8
	v_mul_f16_sdwa v5, v72, v17 dst_sel:DWORD dst_unused:UNUSED_PAD src0_sel:WORD_1 src1_sel:DWORD
	v_mul_f16_sdwa v21, v71, v8 dst_sel:DWORD dst_unused:UNUSED_PAD src0_sel:WORD_1 src1_sel:DWORD
	v_fma_f16 v17, v72, v17, -v20
	v_pack_b32_f16 v4, v4, v19
	v_fmac_f16_e32 v5, v72, v6
	v_mul_f16_sdwa v6, v71, v18 dst_sel:DWORD dst_unused:UNUSED_PAD src0_sel:WORD_1 src1_sel:DWORD
	v_fma_f16 v18, v71, v18, -v21
	ds_write2_b32 v63, v16, v4 offset1:150
	s_waitcnt vmcnt(12)
	v_lshrrev_b32_e32 v19, 16, v9
	v_mul_f16_sdwa v20, v70, v9 dst_sel:DWORD dst_unused:UNUSED_PAD src0_sel:WORD_1 src1_sel:DWORD
	v_pack_b32_f16 v4, v5, v17
	v_fmac_f16_e32 v6, v71, v8
	s_waitcnt vmcnt(11)
	v_lshrrev_b32_e32 v8, 16, v10
	v_mul_f16_sdwa v5, v70, v19 dst_sel:DWORD dst_unused:UNUSED_PAD src0_sel:WORD_1 src1_sel:DWORD
	s_waitcnt vmcnt(10)
	v_mul_f16_sdwa v16, v69, v10 dst_sel:DWORD dst_unused:UNUSED_PAD src0_sel:WORD_1 src1_sel:DWORD
	v_fma_f16 v17, v70, v19, -v20
	v_pack_b32_f16 v6, v6, v18
	v_fmac_f16_e32 v5, v70, v9
	v_mul_f16_sdwa v9, v69, v8 dst_sel:DWORD dst_unused:UNUSED_PAD src0_sel:WORD_1 src1_sel:DWORD
	v_fma_f16 v8, v69, v8, -v16
	s_waitcnt vmcnt(7)
	v_lshrrev_b32_e32 v16, 16, v11
	v_mul_f16_sdwa v18, v68, v11 dst_sel:DWORD dst_unused:UNUSED_PAD src0_sel:WORD_1 src1_sel:DWORD
	ds_write2_b32 v2, v4, v6 offset0:44 offset1:194
	v_pack_b32_f16 v6, v5, v17
	v_fmac_f16_e32 v9, v69, v10
	v_mul_f16_sdwa v4, v68, v16 dst_sel:DWORD dst_unused:UNUSED_PAD src0_sel:WORD_1 src1_sel:DWORD
	s_waitcnt vmcnt(6)
	v_lshrrev_b32_e32 v5, 16, v12
	v_fma_f16 v10, v68, v16, -v18
	v_mul_f16_sdwa v16, v67, v12 dst_sel:DWORD dst_unused:UNUSED_PAD src0_sel:WORD_1 src1_sel:DWORD
	v_pack_b32_f16 v8, v9, v8
	v_fmac_f16_e32 v4, v68, v11
	v_mul_f16_sdwa v9, v67, v5 dst_sel:DWORD dst_unused:UNUSED_PAD src0_sel:WORD_1 src1_sel:DWORD
	s_waitcnt vmcnt(5)
	v_lshrrev_b32_e32 v11, 16, v13
	v_fma_f16 v5, v67, v5, -v16
	s_waitcnt vmcnt(4)
	v_mul_f16_sdwa v16, v66, v13 dst_sel:DWORD dst_unused:UNUSED_PAD src0_sel:WORD_1 src1_sel:DWORD
	v_pack_b32_f16 v10, v4, v10
	v_fmac_f16_e32 v9, v67, v12
	s_waitcnt vmcnt(3)
	v_lshrrev_b32_e32 v4, 16, v14
	s_waitcnt vmcnt(2)
	v_lshrrev_b32_e32 v17, 16, v15
	v_mul_f16_sdwa v12, v66, v11 dst_sel:DWORD dst_unused:UNUSED_PAD src0_sel:WORD_1 src1_sel:DWORD
	v_fma_f16 v11, v66, v11, -v16
	s_waitcnt vmcnt(1)
	v_mul_f16_sdwa v16, v65, v14 dst_sel:DWORD dst_unused:UNUSED_PAD src0_sel:WORD_1 src1_sel:DWORD
	v_pack_b32_f16 v9, v9, v5
	v_mul_f16_sdwa v5, v65, v4 dst_sel:DWORD dst_unused:UNUSED_PAD src0_sel:WORD_1 src1_sel:DWORD
	s_waitcnt vmcnt(0)
	v_mul_f16_sdwa v18, v64, v17 dst_sel:DWORD dst_unused:UNUSED_PAD src0_sel:WORD_1 src1_sel:DWORD
	v_mul_f16_sdwa v19, v64, v15 dst_sel:DWORD dst_unused:UNUSED_PAD src0_sel:WORD_1 src1_sel:DWORD
	v_fmac_f16_e32 v12, v66, v13
	v_fma_f16 v13, v65, v4, -v16
	v_fmac_f16_e32 v5, v65, v14
	v_fmac_f16_e32 v18, v64, v15
	v_fma_f16 v14, v64, v17, -v19
	v_add_nc_u32_e32 v4, 0xe00, v63
	v_pack_b32_f16 v11, v12, v11
	v_pack_b32_f16 v12, v5, v13
	v_add_nc_u32_e32 v5, 0x1200, v63
	v_pack_b32_f16 v13, v18, v14
	ds_write2_b32 v3, v6, v8 offset0:88 offset1:238
	ds_write2_b32 v4, v10, v9 offset0:4 offset1:154
	ds_write2_b32 v5, v11, v12 offset0:48 offset1:198
	ds_write_b32 v63, v13 offset:6000
	s_and_saveexec_b32 s12, vcc_lo
	s_cbranch_execz .LBB0_3
; %bb.2:
	v_mad_u64_u32 v[0:1], null, 0xffffea48, s0, v[0:1]
	s_mulk_i32 s1, 0xea48
	s_clause 0x1
	global_load_dword v10, v[28:29], off offset:440
	global_load_dword v11, v[28:29], off offset:1040
	s_sub_i32 s0, s1, s0
	v_add_nc_u32_e32 v35, 0x600, v63
	v_add_nc_u32_e32 v39, 0xa00, v63
	;; [unrolled: 1-line block ×3, first 2 shown]
	v_add_co_u32 v6, s0, v0, s2
	v_add_co_ci_u32_e64 v7, s0, s3, v1, s0
	global_load_dword v12, v[0:1], off
	v_add_co_u32 v0, s0, v6, s2
	v_add_co_ci_u32_e64 v1, s0, s3, v7, s0
	global_load_dword v13, v[6:7], off
	;; [unrolled: 3-line block ×3, first 2 shown]
	v_add_co_u32 v0, s0, v6, s2
	v_add_co_ci_u32_e64 v1, s0, s3, v7, s0
	s_clause 0x1
	global_load_dword v15, v[28:29], off offset:1640
	global_load_dword v16, v[26:27], off offset:192
	global_load_dword v17, v[6:7], off
	global_load_dword v18, v[0:1], off
	v_add_co_u32 v0, s0, v0, s2
	v_add_co_ci_u32_e64 v1, s0, s3, v1, s0
	s_clause 0x4
	global_load_dword v19, v[26:27], off offset:792
	global_load_dword v20, v[26:27], off offset:1392
	;; [unrolled: 1-line block ×5, first 2 shown]
	v_add_co_u32 v6, s0, v0, s2
	v_add_co_ci_u32_e64 v7, s0, s3, v1, s0
	global_load_dword v31, v[0:1], off
	v_add_co_u32 v0, s0, v6, s2
	v_add_co_ci_u32_e64 v1, s0, s3, v7, s0
	global_load_dword v32, v[6:7], off
	;; [unrolled: 3-line block ×4, first 2 shown]
	v_add_co_u32 v6, s0, v0, s2
	v_add_co_ci_u32_e64 v7, s0, s3, v1, s0
	v_add_co_u32 v8, s0, 0x1800, v28
	v_add_co_ci_u32_e64 v9, s0, 0, v29, s0
	global_load_dword v0, v[0:1], off
	global_load_dword v1, v[6:7], off
	s_clause 0x1
	global_load_dword v6, v[24:25], off offset:1744
	global_load_dword v7, v[8:9], off offset:296
	v_add_nc_u32_e32 v9, 0x100, v63
	s_waitcnt vmcnt(19)
	v_lshrrev_b32_e32 v8, 16, v12
	v_mul_f16_sdwa v36, v10, v12 dst_sel:DWORD dst_unused:UNUSED_PAD src0_sel:WORD_1 src1_sel:DWORD
	v_mul_f16_sdwa v37, v10, v8 dst_sel:DWORD dst_unused:UNUSED_PAD src0_sel:WORD_1 src1_sel:DWORD
	s_waitcnt vmcnt(18)
	v_lshrrev_b32_e32 v38, 16, v13
	v_mul_f16_sdwa v40, v11, v13 dst_sel:DWORD dst_unused:UNUSED_PAD src0_sel:WORD_1 src1_sel:DWORD
	v_fma_f16 v8, v10, v8, -v36
	v_fmac_f16_e32 v37, v10, v12
	v_mul_f16_sdwa v10, v11, v38 dst_sel:DWORD dst_unused:UNUSED_PAD src0_sel:WORD_1 src1_sel:DWORD
	s_waitcnt vmcnt(17)
	v_lshrrev_b32_e32 v12, 16, v14
	v_fma_f16 v36, v11, v38, -v40
	s_waitcnt vmcnt(16)
	v_mul_f16_sdwa v38, v15, v14 dst_sel:DWORD dst_unused:UNUSED_PAD src0_sel:WORD_1 src1_sel:DWORD
	v_pack_b32_f16 v8, v37, v8
	v_fmac_f16_e32 v10, v11, v13
	v_mul_f16_sdwa v11, v15, v12 dst_sel:DWORD dst_unused:UNUSED_PAD src0_sel:WORD_1 src1_sel:DWORD
	s_waitcnt vmcnt(14)
	v_lshrrev_b32_e32 v13, 16, v17
	v_mul_f16_sdwa v37, v16, v17 dst_sel:DWORD dst_unused:UNUSED_PAD src0_sel:WORD_1 src1_sel:DWORD
	v_fma_f16 v12, v15, v12, -v38
	v_pack_b32_f16 v10, v10, v36
	v_fmac_f16_e32 v11, v15, v14
	v_mul_f16_sdwa v14, v16, v13 dst_sel:DWORD dst_unused:UNUSED_PAD src0_sel:WORD_1 src1_sel:DWORD
	v_fma_f16 v13, v16, v13, -v37
	s_waitcnt vmcnt(13)
	v_lshrrev_b32_e32 v15, 16, v18
	ds_write2_b32 v9, v8, v10 offset0:46 offset1:196
	s_waitcnt vmcnt(7)
	v_lshrrev_b32_e32 v10, 16, v31
	v_fmac_f16_e32 v14, v16, v17
	v_mul_f16_sdwa v36, v19, v18 dst_sel:DWORD dst_unused:UNUSED_PAD src0_sel:WORD_1 src1_sel:DWORD
	v_pack_b32_f16 v8, v11, v12
	v_mul_f16_sdwa v9, v19, v15 dst_sel:DWORD dst_unused:UNUSED_PAD src0_sel:WORD_1 src1_sel:DWORD
	v_mul_f16_sdwa v12, v20, v31 dst_sel:DWORD dst_unused:UNUSED_PAD src0_sel:WORD_1 src1_sel:DWORD
	v_pack_b32_f16 v13, v14, v13
	v_mul_f16_sdwa v14, v20, v10 dst_sel:DWORD dst_unused:UNUSED_PAD src0_sel:WORD_1 src1_sel:DWORD
	v_fma_f16 v11, v19, v15, -v36
	v_fmac_f16_e32 v9, v19, v18
	s_waitcnt vmcnt(6)
	v_lshrrev_b32_e32 v15, 16, v32
	v_fma_f16 v10, v20, v10, -v12
	v_mul_f16_sdwa v12, v21, v32 dst_sel:DWORD dst_unused:UNUSED_PAD src0_sel:WORD_1 src1_sel:DWORD
	v_fmac_f16_e32 v14, v20, v31
	s_waitcnt vmcnt(5)
	v_lshrrev_b32_e32 v16, 16, v33
	v_pack_b32_f16 v9, v9, v11
	v_mul_f16_sdwa v11, v21, v15 dst_sel:DWORD dst_unused:UNUSED_PAD src0_sel:WORD_1 src1_sel:DWORD
	v_fma_f16 v12, v21, v15, -v12
	v_mul_f16_sdwa v15, v22, v33 dst_sel:DWORD dst_unused:UNUSED_PAD src0_sel:WORD_1 src1_sel:DWORD
	v_pack_b32_f16 v10, v14, v10
	v_mul_f16_sdwa v14, v22, v16 dst_sel:DWORD dst_unused:UNUSED_PAD src0_sel:WORD_1 src1_sel:DWORD
	v_fmac_f16_e32 v11, v21, v32
	s_waitcnt vmcnt(4)
	v_lshrrev_b32_e32 v17, 16, v34
	v_fma_f16 v15, v22, v16, -v15
	v_mul_f16_sdwa v16, v23, v34 dst_sel:DWORD dst_unused:UNUSED_PAD src0_sel:WORD_1 src1_sel:DWORD
	v_fmac_f16_e32 v14, v22, v33
	s_waitcnt vmcnt(3)
	v_lshrrev_b32_e32 v18, 16, v0
	s_waitcnt vmcnt(2)
	v_lshrrev_b32_e32 v19, 16, v1
	v_pack_b32_f16 v11, v11, v12
	v_mul_f16_sdwa v12, v23, v17 dst_sel:DWORD dst_unused:UNUSED_PAD src0_sel:WORD_1 src1_sel:DWORD
	v_fma_f16 v16, v23, v17, -v16
	s_waitcnt vmcnt(1)
	v_mul_f16_sdwa v17, v6, v0 dst_sel:DWORD dst_unused:UNUSED_PAD src0_sel:WORD_1 src1_sel:DWORD
	v_pack_b32_f16 v14, v14, v15
	v_mul_f16_sdwa v15, v6, v18 dst_sel:DWORD dst_unused:UNUSED_PAD src0_sel:WORD_1 src1_sel:DWORD
	s_waitcnt vmcnt(0)
	v_mul_f16_sdwa v20, v7, v19 dst_sel:DWORD dst_unused:UNUSED_PAD src0_sel:WORD_1 src1_sel:DWORD
	v_mul_f16_sdwa v21, v7, v1 dst_sel:DWORD dst_unused:UNUSED_PAD src0_sel:WORD_1 src1_sel:DWORD
	v_fmac_f16_e32 v12, v23, v34
	v_fma_f16 v17, v6, v18, -v17
	v_fmac_f16_e32 v15, v6, v0
	v_fmac_f16_e32 v20, v7, v1
	v_fma_f16 v0, v7, v19, -v21
	v_add_nc_u32_e32 v1, 0xf00, v63
	v_pack_b32_f16 v6, v12, v16
	v_pack_b32_f16 v7, v15, v17
	v_add_nc_u32_e32 v12, 0x1400, v63
	v_pack_b32_f16 v0, v20, v0
	ds_write2_b32 v35, v8, v13 offset0:26 offset1:176
	ds_write2_b32 v39, v9, v10 offset0:70 offset1:220
	;; [unrolled: 1-line block ×4, first 2 shown]
	ds_write_b32 v63, v0 offset:6440
.LBB0_3:
	s_or_b32 exec_lo, exec_lo, s12
	s_waitcnt lgkmcnt(0)
	s_barrier
	buffer_gl0_inv
	ds_read2_b32 v[10:11], v63 offset1:150
	ds_read2_b32 v[12:13], v2 offset0:44 offset1:194
	ds_read2_b32 v[16:17], v3 offset0:88 offset1:238
	;; [unrolled: 1-line block ×4, first 2 shown]
	ds_read_b32 v46, v63 offset:6000
	v_mov_b32_e32 v2, 0
                                        ; implicit-def: $vgpr4
                                        ; implicit-def: $vgpr7
                                        ; implicit-def: $vgpr0
                                        ; implicit-def: $vgpr9
                                        ; implicit-def: $vgpr21
	s_and_saveexec_b32 s0, vcc_lo
	s_cbranch_execz .LBB0_5
; %bb.4:
	v_add_nc_u32_e32 v0, 0x100, v63
	v_add_nc_u32_e32 v1, 0x600, v63
	;; [unrolled: 1-line block ×5, first 2 shown]
	ds_read2_b32 v[2:3], v0 offset0:46 offset1:196
	ds_read2_b32 v[8:9], v1 offset0:26 offset1:176
	;; [unrolled: 1-line block ×5, first 2 shown]
	ds_read_b32 v21, v63 offset:6440
.LBB0_5:
	s_or_b32 exec_lo, exec_lo, s0
	s_waitcnt lgkmcnt(0)
	v_pk_add_f16 v42, v3, v21 neg_lo:[0,1] neg_hi:[0,1]
	v_mov_b32_e32 v51, 0xbb47
	v_pk_add_f16 v33, v10, v11
	v_pk_add_f16 v31, v21, v3
	v_mov_b32_e32 v44, 0xbbeb
	v_mov_b32_e32 v36, 0xba0c
	v_mul_f16_sdwa v22, v42, v51 dst_sel:DWORD dst_unused:UNUSED_PAD src0_sel:WORD_1 src1_sel:DWORD
	v_pk_add_f16 v48, v8, v1 neg_lo:[0,1] neg_hi:[0,1]
	v_mov_b32_e32 v62, 0x3482
	v_mul_f16_sdwa v34, v42, v44 dst_sel:DWORD dst_unused:UNUSED_PAD src0_sel:WORD_1 src1_sel:DWORD
	v_pk_add_f16 v37, v1, v8
	v_fmamk_f16 v40, v31, 0x36a6, v22
	v_mul_f16_sdwa v23, v48, v36 dst_sel:DWORD dst_unused:UNUSED_PAD src0_sel:WORD_1 src1_sel:DWORD
	v_pk_add_f16 v47, v9, v0 neg_lo:[0,1] neg_hi:[0,1]
	v_pk_add_f16 v33, v33, v12
	v_mul_f16_sdwa v55, v48, v62 dst_sel:DWORD dst_unused:UNUSED_PAD src0_sel:WORD_1 src1_sel:DWORD
	v_fma_f16 v52, v31, 0xb08e, -v34
	v_fmac_f16_e32 v34, 0xb08e, v31
	v_fmamk_f16 v57, v37, 0xb93d, v23
	v_pk_add_f16 v38, v0, v9
	v_mov_b32_e32 v20, 0x3b47
	v_mul_f16_sdwa v35, v47, v62 dst_sel:DWORD dst_unused:UNUSED_PAD src0_sel:WORD_1 src1_sel:DWORD
	v_mov_b32_e32 v53, 0x3beb
	v_pk_add_f16 v43, v6, v5 neg_lo:[0,1] neg_hi:[0,1]
	v_pk_add_f16 v33, v33, v13
	v_add_f16_e32 v77, v40, v2
	v_mov_b32_e32 v41, 0xb853
	v_fma_f16 v54, v37, 0xbbad, -v55
	v_fmac_f16_e32 v55, 0xbbad, v37
	v_mul_f16_sdwa v58, v47, v20 dst_sel:DWORD dst_unused:UNUSED_PAD src0_sel:WORD_1 src1_sel:DWORD
	v_fmamk_f16 v59, v38, 0xbbad, v35
	v_pk_add_f16 v39, v5, v6
	v_mul_f16_sdwa v32, v43, v53 dst_sel:DWORD dst_unused:UNUSED_PAD src0_sel:WORD_1 src1_sel:DWORD
	v_pk_add_f16 v50, v7, v4 neg_lo:[0,1] neg_hi:[0,1]
	v_mov_b32_e32 v76, 0x3853
	v_add_f16_e32 v34, v34, v2
	v_pk_add_f16 v33, v33, v16
	v_add_f16_e32 v57, v57, v77
	v_mul_f16_sdwa v60, v43, v41 dst_sel:DWORD dst_unused:UNUSED_PAD src0_sel:WORD_1 src1_sel:DWORD
	v_fma_f16 v49, v38, 0x36a6, -v58
	v_fmac_f16_e32 v58, 0x36a6, v38
	v_fmamk_f16 v61, v39, 0xb08e, v32
	v_pk_add_f16 v45, v4, v7
	v_mul_f16_sdwa v40, v50, v76 dst_sel:DWORD dst_unused:UNUSED_PAD src0_sel:WORD_1 src1_sel:DWORD
	v_add_f16_e32 v34, v55, v34
	v_pk_add_f16 v33, v33, v17
	v_add_f16_e32 v57, v59, v57
	v_fma_f16 v56, v39, 0x3abb, -v60
	v_fmac_f16_e32 v60, 0x3abb, v39
	v_mul_f16_sdwa v76, v50, v36 dst_sel:DWORD dst_unused:UNUSED_PAD src0_sel:WORD_1 src1_sel:DWORD
	v_fmamk_f16 v77, v45, 0x3abb, v40
	v_add_f16_e32 v34, v58, v34
	v_pk_add_f16 v33, v33, v18
	v_add_f16_e32 v57, v61, v57
	v_pk_add_f16 v78, v11, v46 neg_lo:[0,1] neg_hi:[0,1]
	v_fma_f16 v55, v45, 0xb93d, -v76
	v_fmac_f16_e32 v76, 0xb93d, v45
	v_add_f16_e32 v58, v60, v34
	v_pk_add_f16 v59, v33, v19
	v_add_f16_e32 v34, v77, v57
	v_pk_add_f16 v77, v46, v11
	v_mul_f16_sdwa v79, v78, v41 dst_sel:DWORD dst_unused:UNUSED_PAD src0_sel:WORD_1 src1_sel:DWORD
	v_pk_add_f16 v80, v12, v15 neg_lo:[0,1] neg_hi:[0,1]
	v_add_f16_e32 v33, v76, v58
	v_pk_add_f16 v58, v59, v14
	v_pk_add_f16 v11, v19, v16
	v_pk_add_f16 v19, v16, v19 neg_lo:[0,1] neg_hi:[0,1]
	v_pk_add_f16 v16, v18, v17
	v_pk_add_f16 v81, v17, v18 neg_lo:[0,1] neg_hi:[0,1]
	v_fma_f16 v18, v77, 0x3abb, -v79
	v_pk_add_f16 v57, v15, v12
	v_mul_f16_sdwa v17, v80, v51 dst_sel:DWORD dst_unused:UNUSED_PAD src0_sel:WORD_1 src1_sel:DWORD
	v_pk_mul_f16 v59, 0x3abb36a6, v77
	v_pk_add_f16 v12, v14, v13
	v_pk_add_f16 v82, v13, v14 neg_lo:[0,1] neg_hi:[0,1]
	v_pk_add_f16 v83, v58, v15
	v_add_f16_e32 v13, v10, v18
	v_fma_f16 v14, v57, 0x36a6, -v17
	v_pk_fma_f16 v84, 0xbb47b853, v78, v59 op_sel:[0,0,1] op_sel_hi:[1,1,0] neg_lo:[0,1,0] neg_hi:[0,1,0]
	v_pk_mul_f16 v15, 0x36a6b93d, v57
	v_pk_fma_f16 v85, 0xbb47b853, v78, v59 op_sel:[0,0,1] op_sel_hi:[1,1,0]
	v_lshrrev_b32_e32 v86, 16, v77
	v_mul_f16_e32 v87, 0xbb47, v78
	v_add_f16_e32 v18, v14, v13
	v_pk_fma_f16 v13, 0xba0cbb47, v80, v15 op_sel:[0,0,1] op_sel_hi:[1,1,0] neg_lo:[0,1,0] neg_hi:[0,1,0]
	v_bfi_b32 v14, 0xffff, v85, v84
	v_pk_fma_f16 v88, 0xba0cbb47, v80, v15 op_sel:[0,0,1] op_sel_hi:[1,1,0]
	v_fmamk_f16 v15, v86, 0x36a6, v87
	v_lshrrev_b32_e32 v89, 16, v57
	v_mul_f16_e32 v90, 0xba0c, v80
	v_pk_mul_f16 v60, 0xb08ebbad, v12
	v_pk_add_f16 v58, v10, v14 op_sel:[1,0] op_sel_hi:[0,1]
	v_bfi_b32 v61, 0xffff, v88, v13
	v_add_f16_sdwa v15, v10, v15 dst_sel:DWORD dst_unused:UNUSED_PAD src0_sel:WORD_1 src1_sel:DWORD
	v_fmamk_f16 v76, v89, 0xb93d, v90
	v_mul_f16_sdwa v59, v82, v44 dst_sel:DWORD dst_unused:UNUSED_PAD src0_sel:WORD_1 src1_sel:DWORD
	v_pk_fma_f16 v14, 0x3482bbeb, v82, v60 op_sel:[0,0,1] op_sel_hi:[1,1,0] neg_lo:[0,1,0] neg_hi:[0,1,0]
	v_pk_fma_f16 v91, 0x3482bbeb, v82, v60 op_sel:[0,0,1] op_sel_hi:[1,1,0]
	v_lshrrev_b32_e32 v92, 16, v12
	v_mul_f16_e32 v93, 0x3482, v82
	v_pk_add_f16 v58, v61, v58
	v_add_f16_e32 v60, v76, v15
	v_fma_f16 v61, v12, 0xb08e, -v59
	v_bfi_b32 v76, 0xffff, v91, v14
	v_fmamk_f16 v94, v92, 0xbbad, v93
	v_mul_f16_sdwa v15, v19, v36 dst_sel:DWORD dst_unused:UNUSED_PAD src0_sel:WORD_1 src1_sel:DWORD
	v_pk_mul_f16 v95, 0xb93db08e, v11
	v_add_f16_e32 v61, v61, v18
	v_pk_add_f16 v76, v76, v58
	v_add_f16_e32 v94, v94, v60
	v_fma_f16 v60, v11, 0xb93d, -v15
	v_pk_fma_f16 v58, 0x3bebba0c, v19, v95 op_sel:[0,0,1] op_sel_hi:[1,1,0] neg_lo:[0,1,0] neg_hi:[0,1,0]
	v_pk_fma_f16 v95, 0x3bebba0c, v19, v95 op_sel:[0,0,1] op_sel_hi:[1,1,0]
	v_mov_b32_e32 v18, 0xb482
	v_lshrrev_b32_e32 v96, 16, v11
	v_mul_f16_e32 v97, 0x3beb, v19
	v_pk_mul_f16 v98, 0xbbad3abb, v16
	v_add_f16_e32 v99, v60, v61
	v_bfi_b32 v100, 0xffff, v95, v58
	v_mul_f16_sdwa v60, v81, v18 dst_sel:DWORD dst_unused:UNUSED_PAD src0_sel:WORD_1 src1_sel:DWORD
	v_fmamk_f16 v101, v96, 0xb08e, v97
	v_pk_fma_f16 v61, 0x3853b482, v81, v98 op_sel:[0,0,1] op_sel_hi:[1,1,0] neg_lo:[0,1,0] neg_hi:[0,1,0]
	v_pk_fma_f16 v102, 0x3853b482, v81, v98 op_sel:[0,0,1] op_sel_hi:[1,1,0]
	v_lshrrev_b32_e32 v103, 16, v16
	v_mul_f16_e32 v104, 0x3853, v81
	v_pk_add_f16 v76, v100, v76
	v_fma_f16 v100, v16, 0xbbad, -v60
	v_add_f16_e32 v94, v101, v94
	v_bfi_b32 v101, 0xffff, v102, v61
	v_fmamk_f16 v102, v103, 0x3abb, v104
	v_mul_f16_sdwa v105, v78, v44 dst_sel:DWORD dst_unused:UNUSED_PAD src0_sel:WORD_1 src1_sel:DWORD
	v_add_f16_e32 v99, v100, v99
	v_mul_f16_e32 v100, 0xbbeb, v78
	v_pk_add_f16 v101, v101, v76
	v_add_f16_e32 v94, v102, v94
	v_fma_f16 v76, v77, 0xb08e, -v105
	v_mul_f16_sdwa v62, v80, v62 dst_sel:DWORD dst_unused:UNUSED_PAD src0_sel:WORD_1 src1_sel:DWORD
	v_fmamk_f16 v102, v86, 0xb08e, v100
	v_mul_f16_e32 v106, 0x3482, v80
	v_mul_f16_sdwa v107, v78, v36 dst_sel:DWORD dst_unused:UNUSED_PAD src0_sel:WORD_1 src1_sel:DWORD
	v_add_f16_e32 v76, v10, v76
	v_fma_f16 v108, v57, 0xbbad, -v62
	v_add_f16_sdwa v102, v10, v102 dst_sel:DWORD dst_unused:UNUSED_PAD src0_sel:WORD_1 src1_sel:DWORD
	v_fmamk_f16 v109, v89, 0xbbad, v106
	v_fma_f16 v110, v77, 0xb93d, -v107
	v_mul_f16_e32 v112, 0xba0c, v78
	v_add_f16_e32 v76, v108, v76
	v_mul_f16_e32 v113, 0x3beb, v80
	v_add_f16_e32 v102, v109, v102
	v_add_f16_e32 v108, v10, v110
	v_mul_f16_sdwa v109, v80, v53 dst_sel:DWORD dst_unused:UNUSED_PAD src0_sel:WORD_1 src1_sel:DWORD
	v_fmamk_f16 v110, v86, 0xb93d, v112
	v_mul_f16_sdwa v114, v82, v20 dst_sel:DWORD dst_unused:UNUSED_PAD src0_sel:WORD_1 src1_sel:DWORD
	v_mul_f16_e32 v115, 0x3b47, v82
	v_fmamk_f16 v117, v89, 0xb08e, v113
	v_fma_f16 v116, v57, 0xb08e, -v109
	v_add_f16_sdwa v110, v10, v110 dst_sel:DWORD dst_unused:UNUSED_PAD src0_sel:WORD_1 src1_sel:DWORD
	v_fma_f16 v118, v12, 0x36a6, -v114
	v_fmamk_f16 v119, v92, 0x36a6, v115
	v_mul_f16_sdwa v120, v82, v41 dst_sel:DWORD dst_unused:UNUSED_PAD src0_sel:WORD_1 src1_sel:DWORD
	v_add_f16_e32 v108, v116, v108
	v_add_f16_e32 v110, v117, v110
	v_add_f16_e32 v76, v118, v76
	v_add_f16_e32 v102, v119, v102
	v_fma_f16 v116, v12, 0x3abb, -v120
	v_mul_f16_e32 v117, 0xb853, v82
	v_mul_f16_sdwa v118, v19, v41 dst_sel:DWORD dst_unused:UNUSED_PAD src0_sel:WORD_1 src1_sel:DWORD
	v_mul_f16_e32 v119, 0xb853, v19
	v_mul_f16_sdwa v121, v19, v18 dst_sel:DWORD dst_unused:UNUSED_PAD src0_sel:WORD_1 src1_sel:DWORD
	v_add_f16_e32 v108, v116, v108
	v_fmamk_f16 v116, v92, 0x3abb, v117
	v_fma_f16 v122, v11, 0x3abb, -v118
	v_fmamk_f16 v123, v96, 0x3abb, v119
	v_fma_f16 v124, v11, 0xbbad, -v121
	v_mul_f16_e32 v125, 0xb482, v19
	v_add_f16_e32 v110, v116, v110
	v_add_f16_e32 v76, v122, v76
	;; [unrolled: 1-line block ×4, first 2 shown]
	v_fmamk_f16 v116, v96, 0xbbad, v125
	v_mul_f16_sdwa v122, v81, v36 dst_sel:DWORD dst_unused:UNUSED_PAD src0_sel:WORD_1 src1_sel:DWORD
	v_mul_f16_sdwa v123, v81, v20 dst_sel:DWORD dst_unused:UNUSED_PAD src0_sel:WORD_1 src1_sel:DWORD
	v_mul_f16_e32 v124, 0x3b47, v81
	v_mul_f16_e32 v126, 0xb93d, v103
	v_add_f16_e32 v110, v116, v110
	v_fma_f16 v116, v16, 0xb93d, -v122
	v_fma_f16 v127, v16, 0x36a6, -v123
	v_fmamk_f16 v128, v103, 0x36a6, v124
	v_fmamk_f16 v129, v81, 0xba0c, v126
	v_mul_lo_u16 v111, v73, 11
	v_mov_b32_e32 v130, 2
	v_add_f16_e32 v116, v116, v76
	v_add_f16_e32 v108, v127, v108
	;; [unrolled: 1-line block ×4, first 2 shown]
	v_lshlrev_b32_sdwa v76, v130, v111 dst_sel:DWORD dst_unused:UNUSED_PAD src0_sel:DWORD src1_sel:WORD_0
	v_alignbit_b32 v94, v94, v101, 16
	v_pack_b32_f16 v99, v99, v101
	v_pack_b32_f16 v101, v108, v110
	;; [unrolled: 1-line block ×3, first 2 shown]
	s_barrier
	buffer_gl0_inv
	ds_write2_b32 v76, v99, v94 offset0:1 offset1:2
	ds_write2_b32 v76, v102, v101 offset0:3 offset1:4
	v_fma_f16 v87, v86, 0x36a6, -v87
	v_pk_mul_f16 v99, 0xbbad, v77 op_sel_hi:[0,1]
	v_fmac_f16_e32 v79, 0x3abb, v77
	v_alignbit_b32 v85, s0, v85, 16
	v_fmac_f16_e32 v105, 0xb08e, v77
	v_fmac_f16_e32 v107, 0xb93d, v77
	v_pk_fma_f16 v77, 0xb482, v78, v99 op_sel:[0,0,1] op_sel_hi:[0,1,0] neg_lo:[0,1,0] neg_hi:[0,1,0]
	v_pk_fma_f16 v78, 0xb482, v78, v99 op_sel:[0,0,1] op_sel_hi:[0,1,0]
	v_add_f16_e32 v99, v10, v79
	v_pk_add_f16 v79, v10, v85
	v_add_f16_sdwa v85, v10, v87 dst_sel:DWORD dst_unused:UNUSED_PAD src0_sel:WORD_1 src1_sel:DWORD
	v_pk_mul_f16 v87, 0x3abb, v57 op_sel_hi:[0,1]
	v_fma_f16 v94, v86, 0xb08e, -v100
	v_alignbit_b32 v100, s0, v77, 16
	v_add_f16_e32 v101, v10, v105
	v_add_f16_e32 v102, v10, v107
	v_pk_fma_f16 v105, 0x3853, v80, v87 op_sel:[0,0,1] op_sel_hi:[0,1,0] neg_lo:[0,1,0] neg_hi:[0,1,0]
	v_pk_mul_f16 v107, 0xb93d, v12 op_sel_hi:[0,1]
	v_alignbit_b32 v108, s0, v10, 16
	v_pk_add_f16 v100, v10, v100
	v_pk_add_f16 v78, v10, v78 op_sel:[1,0] op_sel_hi:[0,1]
	v_alignbit_b32 v110, s0, v105, 16
	v_pk_fma_f16 v80, 0x3853, v80, v87 op_sel:[0,0,1] op_sel_hi:[0,1,0]
	v_pk_fma_f16 v87, 0xba0c, v82, v107 op_sel:[0,0,1] op_sel_hi:[0,1,0] neg_lo:[0,1,0] neg_hi:[0,1,0]
	v_pk_add_f16 v77, v108, v77
	v_pk_mul_f16 v108, 0x36a6, v11 op_sel_hi:[0,1]
	v_pk_add_f16 v100, v110, v100
	v_pk_add_f16 v78, v80, v78
	v_alignbit_b32 v80, s0, v87, 16
	v_pk_fma_f16 v82, 0xba0c, v82, v107 op_sel:[0,0,1] op_sel_hi:[0,1,0]
	v_pk_fma_f16 v107, 0x3b47, v19, v108 op_sel:[0,0,1] op_sel_hi:[0,1,0] neg_lo:[0,1,0] neg_hi:[0,1,0]
	v_fma_f16 v86, v86, 0xb93d, -v112
	v_pk_add_f16 v77, v105, v77
	v_pk_add_f16 v80, v80, v100
	;; [unrolled: 1-line block ×3, first 2 shown]
	v_alignbit_b32 v82, s0, v107, 16
	v_pk_mul_f16 v100, 0xb08e, v16 op_sel_hi:[0,1]
	v_add_f16_sdwa v94, v10, v94 dst_sel:DWORD dst_unused:UNUSED_PAD src0_sel:WORD_1 src1_sel:DWORD
	v_add_f16_sdwa v86, v10, v86 dst_sel:DWORD dst_unused:UNUSED_PAD src0_sel:WORD_1 src1_sel:DWORD
	v_pk_fma_f16 v19, 0x3b47, v19, v108 op_sel:[0,0,1] op_sel_hi:[0,1,0]
	v_add_f16_sdwa v105, v10, v84 dst_sel:DWORD dst_unused:UNUSED_PAD src0_sel:WORD_1 src1_sel:DWORD
	v_pk_add_f16 v10, v87, v77
	v_pk_add_f16 v77, v82, v80
	v_pk_fma_f16 v80, 0xbbeb, v81, v100 op_sel:[0,0,1] op_sel_hi:[0,1,0] neg_lo:[0,1,0] neg_hi:[0,1,0]
	v_fma_f16 v82, v89, 0xb08e, -v113
	v_pk_add_f16 v19, v19, v78
	v_pk_fma_f16 v78, 0xbbeb, v81, v100 op_sel:[0,0,1] op_sel_hi:[0,1,0]
	v_fmac_f16_e32 v109, 0xb08e, v57
	v_pk_add_f16 v10, v107, v10
	v_alignbit_b32 v84, s0, v80, 16
	v_add_f16_e32 v82, v82, v86
	v_fma_f16 v86, v92, 0x3abb, -v117
	v_pk_add_f16 v19, v78, v19
	v_add_f16_e32 v78, v109, v102
	v_fmac_f16_e32 v120, 0x3abb, v12
	v_pk_add_f16 v10, v80, v10
	v_pk_add_f16 v77, v84, v77
	v_add_f16_e32 v80, v86, v82
	v_fma_f16 v82, v96, 0xbbad, -v125
	v_add_f16_e32 v78, v120, v78
	v_fmac_f16_e32 v121, 0xbbad, v11
	v_alignbit_b32 v100, v10, v19, 16
	v_pack_b32_f16 v102, v77, v19
	v_add_f16_e32 v19, v82, v80
	v_alignbit_b32 v77, s0, v88, 16
	v_fma_f16 v80, v89, 0xbbad, -v106
	v_add_f16_e32 v10, v121, v78
	v_fma_f16 v78, v89, 0xb93d, -v90
	v_fmac_f16_e32 v62, 0xbbad, v57
	v_pk_add_f16 v77, v77, v79
	v_add_f16_e32 v79, v80, v94
	v_alignbit_b32 v80, s0, v91, 16
	v_add_f16_e32 v78, v78, v85
	v_fma_f16 v84, v92, 0xbbad, -v93
	v_fma_f16 v85, v92, 0x36a6, -v115
	;; [unrolled: 1-line block ×3, first 2 shown]
	v_pk_add_f16 v77, v80, v77
	v_add_f16_e32 v62, v62, v101
	v_add_f16_e32 v78, v84, v78
	;; [unrolled: 1-line block ×3, first 2 shown]
	v_fma_f16 v80, v96, 0x3abb, -v119
	v_pk_mul_f16 v84, 0x3853b482, v81
	v_mul_f16_e32 v81, 0xba0c, v81
	v_lshlrev_b32_e32 v77, 16, v77
	v_fmac_f16_e32 v114, 0x36a6, v12
	v_fmac_f16_e32 v123, 0x36a6, v16
	v_add_f16_e32 v19, v82, v19
	v_fma_f16 v82, v96, 0xb08e, -v97
	v_pack_b32_f16 v80, v80, v98
	v_bfi_b32 v79, 0xffff, v79, v84
	v_pk_add_f16 v81, v126, v81 neg_lo:[0,1] neg_hi:[0,1]
	v_pk_add_f16 v77, v95, v77
	v_add_f16_e32 v62, v114, v62
	v_fmac_f16_e32 v118, 0x3abb, v11
	v_add_f16_e32 v10, v123, v10
	v_add_f16_e32 v78, v82, v78
	v_fma_f16 v82, v103, 0x3abb, -v104
	v_pk_add_f16 v79, v80, v79
	v_bfi_b32 v77, 0xffff, v81, v77
	v_add_f16_e32 v62, v118, v62
	v_fmac_f16_e32 v122, 0xb93d, v16
	v_pk_add_f16 v92, v83, v46
	v_pack_b32_f16 v93, v10, v19
	v_add_f16_e32 v19, v82, v78
	v_pk_add_f16 v77, v77, v79
	v_add_f16_e32 v62, v122, v62
	v_mul_f16_sdwa v46, v42, v41 dst_sel:DWORD dst_unused:UNUSED_PAD src0_sel:WORD_1 src1_sel:DWORD
	v_mul_f16_sdwa v10, v48, v51 dst_sel:DWORD dst_unused:UNUSED_PAD src0_sel:WORD_1 src1_sel:DWORD
	v_lshrrev_b32_e32 v81, 16, v31
	v_mul_f16_e32 v51, 0xbb47, v42
	v_alignbit_b32 v94, v19, v77, 16
	v_pack_b32_f16 v95, v62, v77
	v_fmamk_f16 v19, v31, 0x3abb, v46
	v_mul_f16_e32 v79, 0xbbeb, v42
	v_fma_f16 v78, v81, 0x36a6, -v51
	v_lshrrev_b32_e32 v84, 16, v37
	v_mul_f16_e32 v62, 0xba0c, v48
	v_fmamk_f16 v77, v37, 0x36a6, v10
	v_add_f16_e32 v19, v19, v2
	v_add_f16_sdwa v78, v78, v2 dst_sel:DWORD dst_unused:UNUSED_PAD src0_sel:DWORD src1_sel:WORD_1
	v_fmamk_f16 v80, v81, 0xb08e, v79
	v_mul_f16_e32 v82, 0x3482, v48
	v_fma_f16 v83, v84, 0xb93d, -v62
	v_add_f16_e32 v52, v52, v2
	v_add_f16_e32 v19, v77, v19
	v_add_f16_sdwa v77, v80, v2 dst_sel:DWORD dst_unused:UNUSED_PAD src0_sel:DWORD src1_sel:WORD_1
	v_fmamk_f16 v80, v84, 0xbbad, v82
	v_add_f16_e32 v78, v83, v78
	v_add_f16_e32 v83, v54, v52
	v_mul_f16_sdwa v52, v42, v36 dst_sel:DWORD dst_unused:UNUSED_PAD src0_sel:WORD_1 src1_sel:DWORD
	v_fma_f16 v54, v81, 0xb08e, -v79
	v_add_f16_e32 v77, v80, v77
	v_mul_f16_e32 v79, 0xba0c, v42
	v_fma_f16 v80, v84, 0xbbad, -v82
	v_fma_f16 v82, v31, 0xb93d, -v52
	v_mul_f16_sdwa v53, v48, v53 dst_sel:DWORD dst_unused:UNUSED_PAD src0_sel:WORD_1 src1_sel:DWORD
	v_fmac_f16_e32 v52, 0xb93d, v31
	v_add_f16_sdwa v54, v54, v2 dst_sel:DWORD dst_unused:UNUSED_PAD src0_sel:DWORD src1_sel:WORD_1
	v_fmamk_f16 v85, v81, 0xb93d, v79
	v_mul_f16_e32 v86, 0x3beb, v48
	v_add_f16_e32 v82, v82, v2
	v_fma_f16 v87, v37, 0xb08e, -v53
	v_fmac_f16_e32 v53, 0xb08e, v37
	v_add_f16_e32 v89, v52, v2
	v_pk_mul_f16 v52, 0xb482b853, v42
	v_mul_f16_e32 v42, 0xb482, v42
	v_add_f16_sdwa v85, v85, v2 dst_sel:DWORD dst_unused:UNUSED_PAD src0_sel:DWORD src1_sel:WORD_1
	v_fmamk_f16 v88, v84, 0xb08e, v86
	v_add_f16_e32 v80, v80, v54
	v_add_f16_e32 v82, v87, v82
	;; [unrolled: 1-line block ×3, first 2 shown]
	v_fma_f16 v54, v81, 0xb93d, -v79
	v_pk_fma_f16 v79, 0x3abbbbad, v31, v52 op_sel:[0,0,1] op_sel_hi:[1,1,0] neg_lo:[0,0,1] neg_hi:[0,0,1]
	v_pk_mul_f16 v53, 0x3853bb47, v48
	v_fma_f16 v91, v81, 0xbbad, -v42
	v_mul_f16_e32 v48, 0x3853, v48
	v_add_f16_e32 v85, v88, v85
	v_fma_f16 v88, v84, 0xb08e, -v86
	v_add_f16_sdwa v89, v54, v2 dst_sel:DWORD dst_unused:UNUSED_PAD src0_sel:DWORD src1_sel:WORD_1
	v_pk_add_f16 v79, v79, v2
	v_pk_fma_f16 v90, 0x36a63abb, v37, v53 op_sel:[0,0,1] op_sel_hi:[1,1,0] neg_lo:[0,0,1] neg_hi:[0,0,1]
	v_lshrrev_b32_e32 v86, 16, v38
	v_mul_f16_e32 v54, 0x3482, v47
	v_add_f16_sdwa v91, v91, v2 dst_sel:DWORD dst_unused:UNUSED_PAD src0_sel:DWORD src1_sel:WORD_1
	v_fma_f16 v96, v84, 0x3abb, -v48
	v_mul_f16_sdwa v44, v47, v44 dst_sel:DWORD dst_unused:UNUSED_PAD src0_sel:WORD_1 src1_sel:DWORD
	v_add_f16_e32 v89, v88, v89
	v_fma_f16 v88, v86, 0xbbad, -v54
	v_pk_add_f16 v79, v90, v79
	v_add_f16_e32 v90, v96, v91
	v_mul_f16_e32 v91, 0x3b47, v47
	v_mul_f16_sdwa v41, v47, v41 dst_sel:DWORD dst_unused:UNUSED_PAD src0_sel:WORD_1 src1_sel:DWORD
	v_fmamk_f16 v97, v38, 0xb08e, v44
	v_add_f16_e32 v78, v88, v78
	v_mul_f16_e32 v88, 0xb853, v47
	v_add_f16_e32 v83, v49, v83
	v_fmamk_f16 v49, v86, 0x36a6, v91
	v_fma_f16 v91, v86, 0x36a6, -v91
	v_fma_f16 v96, v38, 0x3abb, -v41
	v_fmac_f16_e32 v41, 0x3abb, v38
	v_add_f16_e32 v19, v97, v19
	v_fmamk_f16 v97, v86, 0x3abb, v88
	v_add_f16_e32 v77, v49, v77
	v_add_f16_e32 v80, v91, v80
	;; [unrolled: 1-line block ×4, first 2 shown]
	v_fma_f16 v91, v86, 0x3abb, -v88
	v_pk_mul_f16 v87, 0xba0cbbeb, v47
	v_mul_f16_e32 v96, 0xba0c, v47
	v_lshrrev_b32_e32 v88, 16, v39
	v_mul_f16_e32 v49, 0x3beb, v43
	v_add_f16_e32 v85, v97, v85
	v_mul_f16_sdwa v47, v43, v36 dst_sel:DWORD dst_unused:UNUSED_PAD src0_sel:WORD_1 src1_sel:DWORD
	v_pk_fma_f16 v36, 0xb08eb93d, v38, v87 op_sel:[0,0,1] op_sel_hi:[1,1,0] neg_lo:[0,0,1] neg_hi:[0,0,1]
	v_fma_f16 v97, v86, 0xb93d, -v96
	v_add_f16_e32 v89, v91, v89
	v_fma_f16 v91, v88, 0xb08e, -v49
	v_fmamk_f16 v98, v39, 0xb93d, v47
	v_pk_add_f16 v36, v36, v79
	v_add_f16_e32 v79, v97, v90
	v_mul_f16_e32 v90, 0xb853, v43
	v_add_f16_e32 v97, v91, v78
	v_mul_f16_sdwa v78, v43, v18 dst_sel:DWORD dst_unused:UNUSED_PAD src0_sel:WORD_1 src1_sel:DWORD
	v_add_f16_e32 v19, v98, v19
	v_mul_f16_e32 v98, 0xb482, v43
	v_add_f16_e32 v83, v56, v83
	v_fmamk_f16 v56, v88, 0x3abb, v90
	v_fma_f16 v90, v88, 0x3abb, -v90
	v_fma_f16 v91, v39, 0xbbad, -v78
	v_fmamk_f16 v101, v88, 0xbbad, v98
	v_fmac_f16_e32 v78, 0xbbad, v39
	v_add_f16_e32 v77, v56, v77
	v_add_f16_e32 v80, v90, v80
	;; [unrolled: 1-line block ×3, first 2 shown]
	v_pk_mul_f16 v90, 0x3b47ba0c, v43
	v_mul_f16_e32 v103, 0x3b47, v43
	v_mul_f16_sdwa v56, v50, v18 dst_sel:DWORD dst_unused:UNUSED_PAD src0_sel:WORD_1 src1_sel:DWORD
	v_lshrrev_b32_e32 v91, 16, v45
	v_mul_f16_e32 v43, 0x3853, v50
	v_add_f16_e32 v85, v101, v85
	v_add_f16_e32 v101, v78, v41
	v_fma_f16 v18, v88, 0xbbad, -v98
	v_pk_fma_f16 v41, 0xb93d36a6, v39, v90 op_sel:[0,0,1] op_sel_hi:[1,1,0] neg_lo:[0,0,1] neg_hi:[0,0,1]
	v_fma_f16 v78, v88, 0x36a6, -v103
	v_fmamk_f16 v98, v45, 0xbbad, v56
	v_fma_f16 v104, v91, 0x3abb, -v43
	v_add_f16_e32 v106, v18, v89
	v_pk_add_f16 v36, v41, v36
	v_add_f16_e32 v107, v78, v79
	v_add_f16_e32 v78, v98, v19
	;; [unrolled: 1-line block ×3, first 2 shown]
	v_mul_f16_e32 v41, 0xba0c, v50
	v_pk_fma_f16 v19, 0x3abbbbad, v31, v52 op_sel:[0,0,1] op_sel_hi:[1,1,0]
	v_mul_f16_e32 v97, 0x3abb, v84
	v_fmamk_f16 v42, v81, 0xbbad, v42
	v_pk_mul_f16 v89, 0x36a63abb, v37
	v_add_f16_e32 v18, v55, v83
	v_fmamk_f16 v55, v91, 0xb93d, v41
	v_pack_b32_f16 v48, v48, v19
	v_perm_b32 v83, v2, v97, 0x5040100
	v_pack_b32_f16 v42, v42, v89
	v_mul_f16_sdwa v97, v50, v20 dst_sel:DWORD dst_unused:UNUSED_PAD src0_sel:WORD_1 src1_sel:DWORD
	v_perm_b32 v20, v53, v2, 0x7060302
	v_add_f16_e32 v19, v55, v77
	v_pk_add_f16 v48, v48, v83
	v_pk_mul_f16 v55, 0xb08eb93d, v38
	v_fma_f16 v41, v91, 0xb93d, -v41
	v_pk_add_f16 v20, v42, v20
	v_mul_f16_e32 v42, 0xb93d, v86
	v_fma_f16 v77, v45, 0x36a6, -v97
	v_fmac_f16_e32 v17, 0x36a6, v57
	v_add_f16_e32 v80, v41, v80
	v_pk_add_f16 v20, v20, v48
	v_pack_b32_f16 v48, v96, v55
	v_bfi_b32 v42, 0xffff, v42, v87
	v_add_f16_e32 v41, v77, v82
	v_pk_mul_f16 v57, 0xb93d36a6, v39
	v_mul_f16_e32 v82, 0x36a6, v88
	v_add_f16_e32 v17, v17, v99
	v_pk_add_f16 v48, v48, v42
	v_fmac_f16_e32 v59, 0xb08e, v12
	v_mul_f16_e32 v77, 0x3b47, v50
	v_pack_b32_f16 v83, v103, v57
	v_bfi_b32 v82, 0xffff, v82, v90
	v_pk_add_f16 v20, v48, v20
	v_add_f16_e32 v48, v13, v105
	v_add_f16_e32 v17, v59, v17
	v_pk_mul_f16 v13, 0xbbebb482, v50
	v_mul_f16_e32 v50, 0xbbeb, v50
	v_mul_f16_e32 v59, 0xb08e, v91
	v_pk_mul_f16 v12, 0xbbadb08e, v45
	v_pk_add_f16 v82, v83, v82
	v_fmac_f16_e32 v15, 0xb93d, v11
	v_add_f16_e32 v11, v14, v48
	v_bfi_b32 v48, 0xffff, v59, v13
	v_pack_b32_f16 v59, v50, v12
	s_load_dwordx2 s[2:3], s[4:5], 0x8
	v_fma_f16 v14, v91, 0x36a6, -v77
	v_pk_add_f16 v20, v82, v20
	v_fmac_f16_e32 v60, 0xbbad, v16
	v_pk_add_f16 v16, v59, v48
	v_add_f16_e32 v15, v15, v17
	v_add_f16_e32 v11, v58, v11
	v_fmamk_f16 v42, v91, 0x36a6, v77
	v_pk_fma_f16 v17, 0xbbadb08e, v45, v13 op_sel:[0,0,1] op_sel_hi:[1,1,0] neg_lo:[0,0,1] neg_hi:[0,0,1]
	v_add_f16_e32 v82, v14, v106
	v_pk_add_f16 v83, v16, v20
	v_fma_f16 v14, v91, 0xb08e, -v50
	v_fmac_f16_e32 v97, 0x36a6, v45
	v_add_co_u32 v20, s0, 0x6e, v73
	v_add_f16_e32 v15, v60, v15
	v_add_f16_e32 v11, v61, v11
	;; [unrolled: 1-line block ×3, first 2 shown]
	v_pk_add_f16 v48, v17, v36
	v_add_f16_e32 v85, v14, v107
	v_add_f16_e32 v36, v97, v101
	v_mul_u32_u24_e32 v77, 11, v20
	v_pack_b32_f16 v11, v15, v11
	v_add_co_ci_u32_e64 v14, null, 0, 0, s0
	ds_write2_b32 v76, v102, v100 offset0:5 offset1:6
	ds_write2_b32 v76, v92, v93 offset1:7
	ds_write2_b32 v76, v95, v94 offset0:8 offset1:9
	ds_write_b32 v76, v11 offset:40
	s_and_saveexec_b32 s0, vcc_lo
	s_cbranch_execz .LBB0_7
; %bb.6:
	v_pk_add_f16 v3, v3, v2
	v_mul_f16_e32 v11, 0x3abb, v31
	v_mul_f16_e32 v14, 0x36a6, v31
	;; [unrolled: 1-line block ×3, first 2 shown]
	v_pk_mul_f16 v31, 0x3abbbbad, v31
	v_pk_add_f16 v3, v8, v3
	v_mul_f16_e32 v16, 0x36a6, v37
	v_mul_f16_e32 v17, 0xb93d, v37
	;; [unrolled: 1-line block ×3, first 2 shown]
	v_add_f16_e32 v15, v51, v15
	v_alignbit_b32 v52, v52, v52, 16
	v_sub_f16_e32 v14, v14, v22
	v_bfi_b32 v8, 0xffff, v46, v31
	v_pk_add_f16 v3, v9, v3
	v_mul_f16_e32 v50, 0xb08e, v38
	v_mul_f16_e32 v38, 0xbbad, v38
	;; [unrolled: 1-line block ×3, first 2 shown]
	v_add_f16_sdwa v15, v15, v2 dst_sel:DWORD dst_unused:UNUSED_PAD src0_sel:DWORD src1_sel:WORD_1
	v_add_f16_e32 v37, v62, v37
	v_alignbit_b32 v53, v53, v53, 16
	v_add_f16_e32 v14, v14, v2
	v_sub_f16_e32 v17, v17, v23
	v_pk_add_f16 v8, v11, v8 neg_lo:[0,1] neg_hi:[0,1]
	v_pk_add_f16 v9, v52, v31
	v_bfi_b32 v10, 0xffff, v10, v89
	v_pk_add_f16 v3, v6, v3
	v_add_f16_e32 v15, v37, v15
	v_add_f16_e32 v37, v54, v58
	v_alignbit_b32 v54, v87, v87, 16
	v_add_f16_e32 v14, v17, v14
	v_sub_f16_e32 v17, v38, v35
	v_bfi_b32 v6, 0xffff, v44, v55
	v_bfi_b32 v8, 0xffff, v8, v9
	v_pk_add_f16 v9, v16, v10 neg_lo:[0,1] neg_hi:[0,1]
	v_pk_add_f16 v10, v53, v89
	v_pk_add_f16 v3, v7, v3
	v_mul_f16_e32 v51, 0xb93d, v39
	v_alignbit_b32 v22, v90, v90, 16
	v_add_f16_e32 v11, v17, v14
	v_pk_add_f16 v6, v50, v6 neg_lo:[0,1] neg_hi:[0,1]
	v_pk_add_f16 v7, v54, v55
	v_bfi_b32 v14, 0xffff, v47, v57
	v_bfi_b32 v9, 0xffff, v9, v10
	v_pk_add_f16 v3, v4, v3
	v_pk_add_f16 v2, v8, v2
	v_mul_f16_e32 v39, 0xb08e, v39
	v_mul_f16_e32 v59, 0xb08e, v88
	;; [unrolled: 1-line block ×3, first 2 shown]
	v_alignbit_b32 v13, v13, v13, 16
	v_bfi_b32 v4, 0xffff, v6, v7
	v_pk_add_f16 v6, v51, v14 neg_lo:[0,1] neg_hi:[0,1]
	v_pk_add_f16 v7, v22, v57
	v_pk_add_f16 v3, v5, v3
	v_pk_add_f16 v2, v9, v2
	v_bfi_b32 v5, 0xffff, v56, v12
	v_mul_f16_e32 v45, 0x3abb, v45
	v_mul_f16_e32 v61, 0x3abb, v91
	v_add_f16_e32 v15, v37, v15
	v_add_f16_e32 v37, v49, v59
	v_sub_f16_e32 v8, v39, v32
	v_bfi_b32 v6, 0xffff, v6, v7
	v_pk_add_f16 v0, v0, v3
	v_pk_add_f16 v2, v4, v2
	v_pk_add_f16 v3, v60, v5 neg_lo:[0,1] neg_hi:[0,1]
	v_pk_add_f16 v4, v13, v12
	v_add_f16_e32 v15, v37, v15
	v_add_f16_e32 v5, v43, v61
	;; [unrolled: 1-line block ×3, first 2 shown]
	v_pk_add_f16 v0, v1, v0
	v_pk_add_f16 v1, v6, v2
	v_bfi_b32 v2, 0xffff, v3, v4
	v_sub_f16_e32 v3, v45, v40
	v_add_f16_e32 v4, v5, v15
	v_lshlrev_b32_e32 v5, 2, v77
	v_pk_add_f16 v0, v21, v0
	v_pk_add_f16 v1, v2, v1
	v_add_f16_e32 v2, v3, v7
	v_perm_b32 v3, v83, v48, 0x5040100
	v_perm_b32 v6, v80, v33, 0x5040100
	;; [unrolled: 1-line block ×3, first 2 shown]
	ds_write2_b32 v5, v0, v1 offset1:1
	v_pack_b32_f16 v0, v2, v4
	v_perm_b32 v1, v19, v18, 0x5040100
	v_perm_b32 v2, v42, v41, 0x5040100
	v_alignbit_b32 v4, v85, v83, 16
	v_bfi_b32 v8, 0xffff, v78, v48
	v_perm_b32 v9, v79, v34, 0x5040100
	ds_write2_b32 v5, v0, v1 offset0:2 offset1:3
	ds_write_b32 v5, v2 offset:16
	ds_write2_b32 v5, v3, v4 offset0:5 offset1:6
	ds_write2_b32 v5, v7, v6 offset0:7 offset1:8
	;; [unrolled: 1-line block ×3, first 2 shown]
.LBB0_7:
	s_or_b32 exec_lo, exec_lo, s0
	v_add_nc_u32_e32 v4, 0xe00, v63
	v_add_nc_u32_e32 v0, 0xa00, v63
	;; [unrolled: 1-line block ×6, first 2 shown]
	s_waitcnt lgkmcnt(0)
	s_barrier
	buffer_gl0_inv
	ds_read2_b32 v[2:3], v63 offset1:110
	ds_read2_b32 v[0:1], v0 offset0:20 offset1:185
	ds_read2_b32 v[14:15], v4 offset0:39 offset1:149
	;; [unrolled: 1-line block ×6, first 2 shown]
	v_cmp_gt_u16_e64 s0, 55, v73
	s_and_saveexec_b32 s1, s0
	s_cbranch_execz .LBB0_9
; %bb.8:
	ds_read_b32 v18, v63 offset:3080
	ds_read_b32 v41, v63 offset:6380
	s_waitcnt lgkmcnt(1)
	v_lshrrev_b32_e32 v19, 16, v18
	s_waitcnt lgkmcnt(0)
	v_lshrrev_b32_e32 v42, 16, v41
.LBB0_9:
	s_or_b32 exec_lo, exec_lo, s1
	v_and_b32_e32 v12, 0xff, v73
	v_and_b32_e32 v17, 0xff, v20
	v_add_co_u32 v21, null, 0x14a, v73
	v_add_co_u32 v22, null, 0x1b8, v73
	v_mul_lo_u16 v12, 0x75, v12
	v_mul_lo_u16 v13, 0x75, v17
	v_mov_b32_e32 v39, 0xba2f
	v_add_co_u32 v37, null, 0x226, v73
	v_lshrrev_b16 v32, 8, v12
	v_lshrrev_b16 v35, 8, v13
	v_add_co_u32 v12, s1, 0xdc, v73
	v_add_co_u32 v38, null, 0x294, v73
	v_sub_nc_u16 v16, v73, v32
	v_sub_nc_u16 v23, v20, v35
	v_add_nc_u16 v44, v73, 0x302
	v_mul_u32_u24_sdwa v45, v38, v39 dst_sel:DWORD dst_unused:UNUSED_PAD src0_sel:WORD_0 src1_sel:DWORD
	v_mov_b32_e32 v94, 22
	v_lshrrev_b16 v31, 1, v16
	v_lshrrev_b16 v23, 1, v23
	v_mov_b32_e32 v16, 2
	v_lshrrev_b32_e32 v45, 19, v45
	s_waitcnt lgkmcnt(2)
	v_lshrrev_b32_e32 v101, 16, v11
	v_and_b32_e32 v40, 0x7f, v31
	v_and_b32_e32 v43, 0x7f, v23
	v_mul_u32_u24_sdwa v31, v12, v39 dst_sel:DWORD dst_unused:UNUSED_PAD src0_sel:WORD_0 src1_sel:DWORD
	v_mul_u32_u24_sdwa v23, v21, v39 dst_sel:DWORD dst_unused:UNUSED_PAD src0_sel:WORD_0 src1_sel:DWORD
	v_mul_lo_u16 v60, v45, 11
	v_add_nc_u16 v40, v40, v32
	v_add_nc_u16 v35, v43, v35
	v_mul_u32_u24_sdwa v32, v22, v39 dst_sel:DWORD dst_unused:UNUSED_PAD src0_sel:WORD_0 src1_sel:DWORD
	v_mul_u32_u24_sdwa v43, v37, v39 dst_sel:DWORD dst_unused:UNUSED_PAD src0_sel:WORD_0 src1_sel:DWORD
	v_lshrrev_b32_e32 v46, 19, v31
	v_lshrrev_b16 v40, 3, v40
	v_lshrrev_b16 v35, 3, v35
	v_lshrrev_b32_e32 v47, 19, v23
	v_lshrrev_b32_e32 v51, 19, v32
	v_mul_u32_u24_sdwa v39, v44, v39 dst_sel:DWORD dst_unused:UNUSED_PAD src0_sel:WORD_0 src1_sel:DWORD
	v_mul_lo_u16 v49, v40, 11
	v_mul_lo_u16 v50, v35, 11
	v_lshrrev_b32_e32 v43, 19, v43
	v_mul_lo_u16 v52, v46, 11
	v_mul_lo_u16 v53, v47, 11
	v_sub_nc_u16 v49, v73, v49
	v_sub_nc_u16 v50, v20, v50
	v_mul_lo_u16 v54, v51, 11
	v_lshrrev_b32_e32 v39, 19, v39
	v_sub_nc_u16 v52, v12, v52
	v_and_b32_e32 v49, 0xff, v49
	v_and_b32_e32 v50, 0xff, v50
	v_sub_nc_u16 v53, v21, v53
	v_sub_nc_u16 v54, v22, v54
	v_mul_lo_u16 v58, v43, 11
	v_mul_lo_u16 v62, v39, 11
	v_lshlrev_b32_sdwa v55, v16, v52 dst_sel:DWORD dst_unused:UNUSED_PAD src0_sel:DWORD src1_sel:WORD_0
	v_lshlrev_b32_e32 v56, 2, v49
	v_lshlrev_b32_e32 v57, 2, v50
	v_lshlrev_b32_sdwa v59, v16, v53 dst_sel:DWORD dst_unused:UNUSED_PAD src0_sel:DWORD src1_sel:WORD_0
	v_lshlrev_b32_sdwa v61, v16, v54 dst_sel:DWORD dst_unused:UNUSED_PAD src0_sel:DWORD src1_sel:WORD_0
	v_sub_nc_u16 v37, v37, v58
	v_sub_nc_u16 v38, v38, v60
	;; [unrolled: 1-line block ×3, first 2 shown]
	s_clause 0x4
	global_load_dword v97, v56, s[2:3]
	global_load_dword v91, v57, s[2:3]
	;; [unrolled: 1-line block ×5, first 2 shown]
	v_lshlrev_b32_sdwa v55, v16, v37 dst_sel:DWORD dst_unused:UNUSED_PAD src0_sel:DWORD src1_sel:WORD_0
	v_lshlrev_b32_sdwa v56, v16, v38 dst_sel:DWORD dst_unused:UNUSED_PAD src0_sel:DWORD src1_sel:WORD_0
	;; [unrolled: 1-line block ×3, first 2 shown]
	s_clause 0x2
	global_load_dword v88, v55, s[2:3]
	global_load_dword v84, v56, s[2:3]
	;; [unrolled: 1-line block ×3, first 2 shown]
	v_lshrrev_b32_e32 v56, 16, v1
	v_mad_u16 v37, v43, 22, v37
	v_mul_u32_u24_sdwa v35, v35, v94 dst_sel:DWORD dst_unused:UNUSED_PAD src0_sel:WORD_0 src1_sel:DWORD
	v_lshrrev_b32_e32 v58, 16, v14
	v_mad_u16 v38, v45, 22, v38
	v_mad_u16 v86, v39, 22, v44
	v_mul_u32_u24_sdwa v39, v40, v94 dst_sel:DWORD dst_unused:UNUSED_PAD src0_sel:WORD_0 src1_sel:DWORD
	v_lshrrev_b32_e32 v60, 16, v15
	v_lshrrev_b32_e32 v62, 16, v10
	v_mad_u16 v46, v46, 22, v52
	v_mad_u16 v47, v47, 22, v53
	s_waitcnt lgkmcnt(0)
	v_lshrrev_b32_e32 v103, 16, v8
	v_lshrrev_b32_e32 v105, 16, v9
	v_mad_u16 v51, v51, 22, v54
	v_lshlrev_b32_sdwa v95, v16, v37 dst_sel:DWORD dst_unused:UNUSED_PAD src0_sel:DWORD src1_sel:WORD_0
	v_add_lshl_u32 v99, v35, v50, 2
	v_lshlrev_b32_sdwa v96, v16, v38 dst_sel:DWORD dst_unused:UNUSED_PAD src0_sel:DWORD src1_sel:WORD_0
	v_add_lshl_u32 v98, v39, v49, 2
	v_lshlrev_b32_sdwa v92, v16, v46 dst_sel:DWORD dst_unused:UNUSED_PAD src0_sel:DWORD src1_sel:WORD_0
	v_lshlrev_b32_sdwa v93, v16, v47 dst_sel:DWORD dst_unused:UNUSED_PAD src0_sel:DWORD src1_sel:WORD_0
	v_lshrrev_b32_e32 v55, 16, v2
	v_lshlrev_b32_sdwa v94, v16, v51 dst_sel:DWORD dst_unused:UNUSED_PAD src0_sel:DWORD src1_sel:WORD_0
	v_lshrrev_b32_e32 v57, 16, v3
	v_lshrrev_b32_e32 v59, 16, v6
	;; [unrolled: 1-line block ×6, first 2 shown]
	v_add_co_ci_u32_e64 v13, null, 0, 0, s1
	s_waitcnt vmcnt(0)
	s_barrier
	buffer_gl0_inv
	v_mul_f16_sdwa v35, v56, v97 dst_sel:DWORD dst_unused:UNUSED_PAD src0_sel:DWORD src1_sel:WORD_1
	v_mul_f16_sdwa v37, v1, v97 dst_sel:DWORD dst_unused:UNUSED_PAD src0_sel:DWORD src1_sel:WORD_1
	v_mul_f16_sdwa v38, v58, v91 dst_sel:DWORD dst_unused:UNUSED_PAD src0_sel:DWORD src1_sel:WORD_1
	v_mul_f16_sdwa v39, v14, v91 dst_sel:DWORD dst_unused:UNUSED_PAD src0_sel:DWORD src1_sel:WORD_1
	v_mul_f16_sdwa v40, v60, v90 dst_sel:DWORD dst_unused:UNUSED_PAD src0_sel:DWORD src1_sel:WORD_1
	v_mul_f16_sdwa v43, v15, v90 dst_sel:DWORD dst_unused:UNUSED_PAD src0_sel:DWORD src1_sel:WORD_1
	v_mul_f16_sdwa v44, v62, v89 dst_sel:DWORD dst_unused:UNUSED_PAD src0_sel:DWORD src1_sel:WORD_1
	v_mul_f16_sdwa v45, v10, v89 dst_sel:DWORD dst_unused:UNUSED_PAD src0_sel:DWORD src1_sel:WORD_1
	v_mul_f16_sdwa v46, v101, v87 dst_sel:DWORD dst_unused:UNUSED_PAD src0_sel:DWORD src1_sel:WORD_1
	v_mul_f16_sdwa v47, v11, v87 dst_sel:DWORD dst_unused:UNUSED_PAD src0_sel:DWORD src1_sel:WORD_1
	v_mul_f16_sdwa v49, v103, v88 dst_sel:DWORD dst_unused:UNUSED_PAD src0_sel:DWORD src1_sel:WORD_1
	v_mul_f16_sdwa v50, v8, v88 dst_sel:DWORD dst_unused:UNUSED_PAD src0_sel:DWORD src1_sel:WORD_1
	v_mul_f16_sdwa v51, v105, v84 dst_sel:DWORD dst_unused:UNUSED_PAD src0_sel:DWORD src1_sel:WORD_1
	v_mul_f16_sdwa v52, v9, v84 dst_sel:DWORD dst_unused:UNUSED_PAD src0_sel:DWORD src1_sel:WORD_1
	v_mul_f16_sdwa v53, v42, v81 dst_sel:DWORD dst_unused:UNUSED_PAD src0_sel:DWORD src1_sel:WORD_1
	v_fma_f16 v1, v1, v97, -v35
	v_fmac_f16_e32 v37, v56, v97
	v_fma_f16 v14, v14, v91, -v38
	v_fmac_f16_e32 v39, v58, v91
	;; [unrolled: 2-line block ×5, first 2 shown]
	v_mul_f16_sdwa v54, v41, v81 dst_sel:DWORD dst_unused:UNUSED_PAD src0_sel:DWORD src1_sel:WORD_1
	v_fma_f16 v8, v8, v88, -v49
	v_fmac_f16_e32 v50, v103, v88
	v_fma_f16 v9, v9, v84, -v51
	v_fmac_f16_e32 v52, v105, v84
	v_fma_f16 v35, v41, v81, -v53
	v_sub_f16_e32 v1, v2, v1
	v_sub_f16_e32 v37, v55, v37
	;; [unrolled: 1-line block ×10, first 2 shown]
	v_fmac_f16_e32 v54, v42, v81
	v_sub_f16_e32 v8, v5, v8
	v_sub_f16_e32 v42, v102, v50
	;; [unrolled: 1-line block ×5, first 2 shown]
	v_fma_f16 v2, v2, 2.0, -v1
	v_fma_f16 v35, v55, 2.0, -v37
	;; [unrolled: 1-line block ×10, first 2 shown]
	v_sub_f16_e32 v108, v19, v54
	v_fma_f16 v5, v5, 2.0, -v8
	v_fma_f16 v50, v102, 2.0, -v42
	;; [unrolled: 1-line block ×4, first 2 shown]
	v_pack_b32_f16 v1, v1, v37
	v_pack_b32_f16 v2, v2, v35
	;; [unrolled: 1-line block ×14, first 2 shown]
	ds_write2_b32 v98, v2, v1 offset1:11
	ds_write2_b32 v99, v3, v14 offset1:11
	;; [unrolled: 1-line block ×7, first 2 shown]
	s_and_saveexec_b32 s1, s0
	s_cbranch_execz .LBB0_11
; %bb.10:
	v_fma_f16 v0, v18, 2.0, -v47
	v_fma_f16 v1, v19, 2.0, -v108
	v_lshlrev_b32_sdwa v2, v16, v86 dst_sel:DWORD dst_unused:UNUSED_PAD src0_sel:DWORD src1_sel:WORD_0
	v_pack_b32_f16 v0, v0, v1
	v_perm_b32 v1, v108, v47, 0x5040100
	ds_write2_b32 v2, v0, v1 offset1:11
.LBB0_11:
	s_or_b32 exec_lo, exec_lo, s1
	v_lshrrev_b16 v0, 1, v73
	v_lshrrev_b32_e32 v19, 20, v32
	v_lshrrev_b16 v2, 1, v17
	v_lshrrev_b32_e32 v31, 20, v31
	v_lshrrev_b32_e32 v23, 20, v23
	v_and_b32_e32 v0, 0x7f, v0
	v_mul_lo_u16 v1, v19, 22
	s_waitcnt lgkmcnt(0)
	s_barrier
	v_mul_lo_u16 v3, v23, 22
	v_mul_lo_u16 v0, 0xbb, v0
	v_sub_nc_u16 v32, v22, v1
	v_mul_lo_u16 v1, 0xbb, v2
	buffer_gl0_inv
	v_sub_nc_u16 v52, v21, v3
	v_lshrrev_b16 v49, 11, v0
	v_mul_lo_u16 v0, v31, 22
	v_lshlrev_b16 v2, 3, v32
	v_lshrrev_b16 v50, 11, v1
	v_lshlrev_b16 v4, 3, v52
	v_mul_lo_u16 v1, v49, 22
	v_sub_nc_u16 v51, v12, v0
	v_and_b32_e32 v0, 0xffff, v2
	v_mul_lo_u16 v2, v50, 22
	v_add_nc_u32_e32 v35, 0x600, v63
	v_sub_nc_u16 v3, v73, v1
	v_add_nc_u32_e32 v59, 0x1000, v63
	v_add_co_u32 v0, s1, s2, v0
	v_sub_nc_u16 v2, v20, v2
	v_add_co_ci_u32_e64 v1, null, s3, 0, s1
	v_and_b32_e32 v53, 0xff, v3
	v_lshlrev_b16 v3, 3, v51
	v_and_b32_e32 v54, 0xff, v2
	global_load_dwordx2 v[37:38], v[0:1], off offset:44
	v_and_b32_e32 v2, 0xffff, v4
	v_lshlrev_b32_e32 v0, 3, v53
	v_and_b32_e32 v1, 0xffff, v3
	v_lshlrev_b32_e32 v3, 3, v54
	v_add_nc_u32_e32 v58, 0x1400, v63
	v_mul_lo_u16 v17, 0xf9, v17
	global_load_dwordx2 v[45:46], v0, s[2:3] offset:44
	v_mov_b32_e32 v18, 0xf83f
	global_load_dwordx2 v[43:44], v3, s[2:3] offset:44
	v_add_co_u32 v0, s1, s2, v1
	v_add_co_ci_u32_e64 v1, null, s3, 0, s1
	v_add_co_u32 v2, s1, s2, v2
	v_add_co_ci_u32_e64 v3, null, s3, 0, s1
	s_clause 0x1
	global_load_dwordx2 v[41:42], v[0:1], off offset:44
	global_load_dwordx2 v[39:40], v[2:3], off offset:44
	v_add_co_u32 v10, s1, 0xffffffbe, v73
	v_add_co_ci_u32_e64 v11, null, 0, -1, s1
	v_cmp_gt_u16_e64 s1, 0x42, v73
	v_add_nc_u32_e32 v57, 0xa00, v63
	v_add_nc_u32_e32 v61, 0xc00, v63
	v_add_nc_u32_e32 v60, 0x200, v63
	ds_read2_b32 v[0:1], v63 offset1:110
	ds_read_b32 v55, v63 offset:6160
	ds_read2_b32 v[2:3], v35 offset0:56 offset1:166
	ds_read2_b32 v[4:5], v59 offset0:76 offset1:186
	;; [unrolled: 1-line block ×4, first 2 shown]
	v_cndmask_b32_e64 v15, v11, 0, s1
	v_cndmask_b32_e64 v14, v10, v73, s1
	v_lshrrev_b16 v62, 14, v17
	v_mul_u32_u24_sdwa v100, v12, v18 dst_sel:DWORD dst_unused:UNUSED_PAD src0_sel:WORD_0 src1_sel:DWORD
	ds_read2_b32 v[10:11], v58 offset0:40 offset1:150
	ds_read2_b32 v[17:18], v61 offset0:112 offset1:222
	v_mov_b32_e32 v56, 0x42
	v_mad_u16 v31, 0x42, v31, v51
	v_mad_u16 v23, 0x42, v23, v52
	v_lshrrev_b32_e32 v103, 22, v100
	v_mad_u16 v19, 0x42, v19, v32
	v_mul_u32_u24_sdwa v50, v50, v56 dst_sel:DWORD dst_unused:UNUSED_PAD src0_sel:WORD_0 src1_sel:DWORD
	v_mul_u32_u24_sdwa v49, v49, v56 dst_sel:DWORD dst_unused:UNUSED_PAD src0_sel:WORD_0 src1_sel:DWORD
	v_lshlrev_b32_sdwa v102, v16, v31 dst_sel:DWORD dst_unused:UNUSED_PAD src0_sel:DWORD src1_sel:WORD_0
	v_mul_lo_u16 v32, 0x42, v103
	v_lshlrev_b32_sdwa v101, v16, v23 dst_sel:DWORD dst_unused:UNUSED_PAD src0_sel:DWORD src1_sel:WORD_0
	v_add_lshl_u32 v106, v50, v54, 2
	v_add_lshl_u32 v107, v49, v53, 2
	s_waitcnt lgkmcnt(6)
	v_lshrrev_b32_e32 v104, 16, v55
	s_waitcnt lgkmcnt(5)
	v_lshrrev_b32_e32 v23, 16, v3
	;; [unrolled: 2-line block ×3, first 2 shown]
	v_lshlrev_b32_sdwa v100, v16, v19 dst_sel:DWORD dst_unused:UNUSED_PAD src0_sel:DWORD src1_sel:WORD_0
	v_sub_nc_u16 v19, v12, v32
	s_waitcnt lgkmcnt(3)
	v_lshrrev_b32_e32 v32, 16, v6
	v_lshrrev_b32_e32 v56, 16, v5
	s_waitcnt lgkmcnt(0)
	v_lshrrev_b32_e32 v115, 16, v18
	v_lshrrev_b32_e32 v109, 16, v7
	;; [unrolled: 1-line block ×10, first 2 shown]
	v_lshlrev_b64 v[21:22], 4, v[14:15]
	v_mul_lo_u16 v15, 0x42, v62
	v_lshlrev_b16 v116, 4, v19
	s_waitcnt vmcnt(0)
	s_barrier
	buffer_gl0_inv
	v_sub_nc_u16 v15, v20, v15
	v_add_co_u32 v21, s1, s2, v21
	v_add_co_ci_u32_e64 v22, s1, s3, v22, s1
	v_and_b32_e32 v15, 0xff, v15
	v_mad_u16 v19, 0x14a, v103, v19
	v_lshlrev_b64 v[12:13], 4, v[12:13]
	v_lshlrev_b32_sdwa v103, v16, v19 dst_sel:DWORD dst_unused:UNUSED_PAD src0_sel:DWORD src1_sel:WORD_0
	v_mul_f16_sdwa v49, v115, v37 dst_sel:DWORD dst_unused:UNUSED_PAD src0_sel:DWORD src1_sel:WORD_1
	v_mul_f16_sdwa v50, v18, v37 dst_sel:DWORD dst_unused:UNUSED_PAD src0_sel:DWORD src1_sel:WORD_1
	;; [unrolled: 1-line block ×4, first 2 shown]
	v_fma_f16 v18, v18, v37, -v49
	v_fmac_f16_e32 v50, v115, v37
	v_fma_f16 v49, v55, v38, -v53
	v_fmac_f16_e32 v54, v104, v38
	v_mul_f16_sdwa v53, v23, v45 dst_sel:DWORD dst_unused:UNUSED_PAD src0_sel:DWORD src1_sel:WORD_1
	v_mul_f16_sdwa v55, v3, v45 dst_sel:DWORD dst_unused:UNUSED_PAD src0_sel:DWORD src1_sel:WORD_1
	;; [unrolled: 1-line block ×8, first 2 shown]
	v_add_f16_e32 v129, v2, v18
	v_add_f16_e32 v132, v114, v50
	v_mul_f16_sdwa v121, v109, v41 dst_sel:DWORD dst_unused:UNUSED_PAD src0_sel:DWORD src1_sel:WORD_1
	v_mul_f16_sdwa v122, v7, v41 dst_sel:DWORD dst_unused:UNUSED_PAD src0_sel:DWORD src1_sel:WORD_1
	;; [unrolled: 1-line block ×8, first 2 shown]
	v_fma_f16 v3, v3, v45, -v53
	v_fmac_f16_e32 v55, v23, v45
	v_fma_f16 v4, v4, v46, -v104
	v_fmac_f16_e32 v115, v31, v46
	;; [unrolled: 2-line block ×6, first 2 shown]
	v_add_f16_e32 v130, v18, v49
	v_sub_f16_e32 v131, v50, v54
	v_add_f16_e32 v50, v50, v54
	v_sub_f16_e32 v18, v18, v49
	v_fma_f16 v17, v17, v39, -v125
	v_fmac_f16_e32 v126, v112, v39
	v_fma_f16 v11, v11, v40, -v127
	v_fmac_f16_e32 v128, v113, v40
	v_add_f16_e32 v23, v129, v49
	v_add_f16_e32 v31, v132, v54
	;; [unrolled: 1-line block ×8, first 2 shown]
	v_fmac_f16_e32 v114, -0.5, v50
	v_add_f16_e32 v32, v0, v3
	v_sub_f16_e32 v50, v55, v115
	v_add_f16_e32 v53, v51, v55
	v_sub_f16_e32 v3, v3, v4
	v_sub_f16_e32 v104, v118, v120
	v_add_f16_e32 v109, v52, v118
	v_sub_f16_e32 v117, v122, v124
	v_add_f16_e32 v118, v105, v122
	v_add_f16_e32 v122, v17, v11
	v_sub_f16_e32 v123, v126, v128
	v_add_f16_e32 v125, v111, v126
	v_add_f16_e32 v126, v126, v128
	v_fma_f16 v0, -0.5, v49, v0
	v_fmac_f16_e32 v51, -0.5, v54
	v_add_f16_e32 v55, v1, v6
	v_sub_f16_e32 v6, v6, v5
	v_fmac_f16_e32 v1, -0.5, v56
	v_fmac_f16_e32 v52, -0.5, v110
	v_add_f16_e32 v112, v8, v7
	v_sub_f16_e32 v7, v7, v10
	v_fma_f16 v8, -0.5, v113, v8
	v_fmac_f16_e32 v105, -0.5, v119
	v_fmac_f16_e32 v2, -0.5, v130
	v_add_f16_e32 v121, v9, v17
	v_sub_f16_e32 v17, v17, v11
	v_fmamk_f16 v129, v18, 0xbaee, v114
	v_fmac_f16_e32 v114, 0x3aee, v18
	v_pack_b32_f16 v18, v23, v31
	v_add_f16_e32 v4, v32, v4
	v_add_f16_e32 v23, v53, v115
	v_fmac_f16_e32 v9, -0.5, v122
	v_fmac_f16_e32 v111, -0.5, v126
	v_fmamk_f16 v54, v50, 0x3aee, v0
	v_fmac_f16_e32 v0, 0xbaee, v50
	v_fmamk_f16 v50, v3, 0xbaee, v51
	v_fmac_f16_e32 v51, 0x3aee, v3
	v_add_f16_e32 v5, v55, v5
	v_add_f16_e32 v31, v109, v120
	v_fmamk_f16 v3, v104, 0x3aee, v1
	v_fmamk_f16 v55, v6, 0xbaee, v52
	v_fmac_f16_e32 v1, 0xbaee, v104
	v_fmac_f16_e32 v52, 0x3aee, v6
	v_add_f16_e32 v10, v112, v10
	v_add_f16_e32 v32, v118, v124
	v_fmamk_f16 v6, v117, 0x3aee, v8
	v_fmamk_f16 v56, v7, 0xbaee, v105
	;; [unrolled: 1-line block ×3, first 2 shown]
	v_fmac_f16_e32 v2, 0xbaee, v131
	v_add_f16_e32 v11, v121, v11
	v_add_f16_e32 v49, v125, v128
	v_fmac_f16_e32 v8, 0xbaee, v117
	v_fmac_f16_e32 v105, 0x3aee, v7
	v_fmamk_f16 v7, v123, 0x3aee, v9
	v_fmac_f16_e32 v9, 0xbaee, v123
	v_fmamk_f16 v104, v17, 0xbaee, v111
	v_fmac_f16_e32 v111, 0x3aee, v17
	v_pack_b32_f16 v4, v4, v23
	v_pack_b32_f16 v17, v54, v50
	;; [unrolled: 1-line block ×14, first 2 shown]
	ds_write2_b32 v107, v4, v17 offset1:22
	ds_write_b32 v107, v0 offset:176
	ds_write2_b32 v106, v5, v3 offset1:22
	ds_write_b32 v106, v1 offset:176
	;; [unrolled: 2-line block ×5, first 2 shown]
	v_lshlrev_b32_e32 v0, 4, v15
	v_and_b32_e32 v1, 0xffff, v116
	s_waitcnt lgkmcnt(0)
	s_barrier
	buffer_gl0_inv
	s_clause 0x1
	global_load_dwordx4 v[8:11], v[21:22], off offset:220
	global_load_dwordx4 v[4:7], v0, s[2:3] offset:220
	v_add_co_u32 v0, s1, s2, v1
	v_add_co_ci_u32_e64 v1, null, s3, 0, s1
	v_cmp_lt_u16_e64 s1, 0x41, v73
	v_mov_b32_e32 v23, 0x14a
	global_load_dwordx4 v[0:3], v[0:1], off offset:220
	ds_read2_b32 v[17:18], v63 offset1:110
	ds_read2_b32 v[21:22], v60 offset0:92 offset1:202
	ds_read2_b32 v[31:32], v57 offset0:20 offset1:130
	;; [unrolled: 1-line block ×5, first 2 shown]
	v_cndmask_b32_e64 v104, 0, 0x14a, s1
	ds_read2_b32 v[55:56], v59 offset0:76 offset1:186
	v_mul_u32_u24_sdwa v23, v62, v23 dst_sel:DWORD dst_unused:UNUSED_PAD src0_sel:WORD_0 src1_sel:DWORD
	v_lshlrev_b32_e32 v62, 4, v73
	v_add_co_u32 v12, s1, s2, v12
	v_add_lshl_u32 v105, v14, v104, 2
	ds_read_b32 v14, v63 offset:6160
	v_add_lshl_u32 v104, v23, v15, 2
	s_waitcnt vmcnt(0) lgkmcnt(0)
	s_barrier
	buffer_gl0_inv
	v_add_co_ci_u32_e64 v13, s1, s3, v13, s1
	v_lshrrev_b32_e32 v15, 16, v17
	v_lshrrev_b32_e32 v16, 16, v22
	;; [unrolled: 1-line block ×15, first 2 shown]
	v_mul_f16_sdwa v120, v16, v8 dst_sel:DWORD dst_unused:UNUSED_PAD src0_sel:DWORD src1_sel:WORD_1
	v_mul_f16_sdwa v121, v22, v8 dst_sel:DWORD dst_unused:UNUSED_PAD src0_sel:DWORD src1_sel:WORD_1
	;; [unrolled: 1-line block ×24, first 2 shown]
	v_fma_f16 v22, v22, v8, -v120
	v_fmac_f16_e32 v121, v16, v8
	v_fma_f16 v16, v31, v9, -v122
	v_fmac_f16_e32 v123, v19, v9
	;; [unrolled: 2-line block ×12, first 2 shown]
	v_add_f16_e32 v54, v17, v22
	v_add_f16_e32 v55, v16, v19
	v_sub_f16_e32 v111, v22, v16
	v_sub_f16_e32 v112, v23, v19
	v_add_f16_e32 v113, v22, v23
	v_add_f16_e32 v117, v15, v121
	;; [unrolled: 1-line block ×4, first 2 shown]
	v_sub_f16_e32 v56, v121, v127
	v_sub_f16_e32 v114, v16, v22
	;; [unrolled: 1-line block ×7, first 2 shown]
	v_add_f16_e32 v128, v18, v31
	v_add_f16_e32 v130, v32, v50
	;; [unrolled: 1-line block ×6, first 2 shown]
	v_sub_f16_e32 v22, v22, v23
	v_sub_f16_e32 v119, v16, v19
	v_add_f16_e32 v152, v21, v52
	v_add_f16_e32 v153, v49, v53
	;; [unrolled: 1-line block ×7, first 2 shown]
	v_fma_f16 v54, -0.5, v55, v17
	v_add_f16_e32 v55, v111, v112
	v_fma_f16 v17, -0.5, v113, v17
	v_add_f16_e32 v112, v117, v123
	v_fma_f16 v113, -0.5, v118, v15
	v_sub_f16_e32 v109, v123, v125
	v_sub_f16_e32 v136, v31, v32
	;; [unrolled: 1-line block ×3, first 2 shown]
	v_fmac_f16_e32 v15, -0.5, v124
	v_sub_f16_e32 v132, v129, v135
	v_sub_f16_e32 v142, v32, v31
	;; [unrolled: 1-line block ×4, first 2 shown]
	v_add_f16_e32 v111, v114, v116
	v_add_f16_e32 v114, v120, v122
	;; [unrolled: 1-line block ×4, first 2 shown]
	v_fma_f16 v117, -0.5, v130, v18
	v_add_f16_e32 v121, v145, v131
	v_fma_f16 v122, -0.5, v146, v110
	v_sub_f16_e32 v134, v131, v133
	v_sub_f16_e32 v144, v50, v51
	v_fmac_f16_e32 v18, -0.5, v140
	v_fmac_f16_e32 v110, -0.5, v150
	v_sub_f16_e32 v148, v129, v131
	v_sub_f16_e32 v129, v131, v129
	;; [unrolled: 1-line block ×8, first 2 shown]
	v_add_f16_e32 v49, v152, v49
	v_fma_f16 v126, -0.5, v153, v21
	v_fmac_f16_e32 v21, -0.5, v158
	v_add_f16_e32 v130, v161, v139
	v_fma_f16 v131, -0.5, v162, v115
	v_fmac_f16_e32 v115, -0.5, v166
	v_add_f16_e32 v16, v16, v19
	v_fmamk_f16 v19, v56, 0x3b9c, v54
	v_add_f16_e32 v112, v112, v125
	v_fmamk_f16 v125, v22, 0xbb9c, v113
	v_sub_f16_e32 v164, v137, v139
	v_sub_f16_e32 v137, v139, v137
	v_add_f16_e32 v118, v136, v138
	v_fmamk_f16 v138, v109, 0xbb9c, v17
	v_fmac_f16_e32 v17, 0x3b9c, v109
	v_fmamk_f16 v139, v119, 0x3b9c, v15
	v_fmac_f16_e32 v15, 0xbb9c, v119
	v_fmac_f16_e32 v54, 0xbb9c, v56
	;; [unrolled: 1-line block ×3, first 2 shown]
	v_sub_f16_e32 v149, v135, v133
	v_sub_f16_e32 v151, v133, v135
	v_add_f16_e32 v32, v32, v50
	v_fmamk_f16 v50, v132, 0x3b9c, v117
	v_add_f16_e32 v121, v121, v133
	v_fmamk_f16 v133, v31, 0xbb9c, v122
	;; [unrolled: 2-line block ×3, first 2 shown]
	v_fmac_f16_e32 v18, 0x3b9c, v134
	v_fmamk_f16 v142, v147, 0x3b9c, v110
	v_fmac_f16_e32 v110, 0xbb9c, v147
	v_sub_f16_e32 v157, v14, v53
	v_sub_f16_e32 v160, v53, v14
	;; [unrolled: 1-line block ×4, first 2 shown]
	v_fmac_f16_e32 v117, 0xbb9c, v132
	v_fmac_f16_e32 v122, 0x3b9c, v31
	v_add_f16_e32 v49, v49, v53
	v_fmamk_f16 v53, v154, 0x3b9c, v126
	v_fmac_f16_e32 v126, 0xbb9c, v154
	v_fmamk_f16 v144, v155, 0xbb9c, v21
	v_fmac_f16_e32 v21, 0x3b9c, v155
	v_add_f16_e32 v130, v130, v141
	v_fmamk_f16 v141, v52, 0xbb9c, v131
	v_fmac_f16_e32 v131, 0x3b9c, v52
	v_fmamk_f16 v145, v163, 0x3b9c, v115
	v_fmac_f16_e32 v115, 0xbb9c, v163
	v_fmac_f16_e32 v19, 0x38b4, v109
	;; [unrolled: 1-line block ×9, first 2 shown]
	v_add_f16_e32 v123, v148, v149
	v_fmac_f16_e32 v50, 0x38b4, v134
	v_fmac_f16_e32 v133, 0xb8b4, v147
	v_add_f16_e32 v124, v129, v151
	v_fmac_f16_e32 v140, 0x38b4, v132
	v_fmac_f16_e32 v18, 0xb8b4, v132
	;; [unrolled: 1-line block ×4, first 2 shown]
	v_add_f16_e32 v128, v156, v157
	v_add_f16_e32 v129, v159, v160
	;; [unrolled: 1-line block ×6, first 2 shown]
	v_fmac_f16_e32 v117, 0xb8b4, v134
	v_fmac_f16_e32 v122, 0x38b4, v147
	;; [unrolled: 1-line block ×18, first 2 shown]
	v_add_f16_e32 v22, v32, v51
	v_add_f16_e32 v32, v121, v135
	;; [unrolled: 1-line block ×4, first 2 shown]
	v_fmac_f16_e32 v50, 0x34f2, v118
	v_fmac_f16_e32 v133, 0x34f2, v123
	;; [unrolled: 1-line block ×16, first 2 shown]
	v_pack_b32_f16 v16, v16, v23
	v_pack_b32_f16 v19, v19, v125
	;; [unrolled: 1-line block ×15, first 2 shown]
	ds_write2_b32 v105, v16, v19 offset1:66
	ds_write2_b32 v105, v23, v15 offset0:132 offset1:198
	ds_write_b32 v105, v17 offset:1056
	ds_write2_b32 v104, v22, v31 offset1:66
	ds_write2_b32 v104, v32, v18 offset0:132 offset1:198
	ds_write_b32 v104, v49 offset:1056
	;; [unrolled: 3-line block ×3, first 2 shown]
	v_lshlrev_b32_e32 v14, 4, v20
	s_waitcnt lgkmcnt(0)
	s_barrier
	buffer_gl0_inv
	s_clause 0x2
	global_load_dwordx4 v[16:19], v62, s[2:3] offset:1276
	global_load_dwordx4 v[20:23], v14, s[2:3] offset:1276
	global_load_dwordx4 v[12:15], v[12:13], off offset:1276
	ds_read2_b32 v[55:56], v63 offset1:110
	ds_read2_b32 v[49:50], v60 offset0:92 offset1:202
	ds_read2_b32 v[51:52], v57 offset0:20 offset1:130
	;; [unrolled: 1-line block ×6, first 2 shown]
	ds_read_b32 v62, v63 offset:6160
	v_add_co_u32 v53, s1, 0x19c8, v28
	v_add_co_ci_u32_e64 v54, s1, 0, v29, s1
	v_add_co_u32 v31, s1, 0x1800, v28
	v_add_co_ci_u32_e64 v32, s1, 0, v29, s1
	s_waitcnt lgkmcnt(7)
	v_lshrrev_b32_e32 v119, 16, v55
	s_waitcnt lgkmcnt(6)
	v_lshrrev_b32_e32 v109, 16, v50
	;; [unrolled: 2-line block ×6, first 2 shown]
	v_lshrrev_b32_e32 v125, 16, v52
	s_waitcnt lgkmcnt(1)
	v_lshrrev_b32_e32 v126, 16, v117
	v_lshrrev_b32_e32 v127, 16, v114
	;; [unrolled: 1-line block ×5, first 2 shown]
	s_waitcnt lgkmcnt(0)
	v_lshrrev_b32_e32 v131, 16, v62
	v_lshrrev_b32_e32 v123, 16, v56
	;; [unrolled: 1-line block ×3, first 2 shown]
	s_waitcnt vmcnt(2)
	v_mul_f16_sdwa v132, v109, v16 dst_sel:DWORD dst_unused:UNUSED_PAD src0_sel:DWORD src1_sel:WORD_1
	v_mul_f16_sdwa v133, v50, v16 dst_sel:DWORD dst_unused:UNUSED_PAD src0_sel:DWORD src1_sel:WORD_1
	v_mul_f16_sdwa v134, v120, v17 dst_sel:DWORD dst_unused:UNUSED_PAD src0_sel:DWORD src1_sel:WORD_1
	v_mul_f16_sdwa v135, v51, v17 dst_sel:DWORD dst_unused:UNUSED_PAD src0_sel:DWORD src1_sel:WORD_1
	v_mul_f16_sdwa v136, v121, v18 dst_sel:DWORD dst_unused:UNUSED_PAD src0_sel:DWORD src1_sel:WORD_1
	v_mul_f16_sdwa v137, v112, v18 dst_sel:DWORD dst_unused:UNUSED_PAD src0_sel:DWORD src1_sel:WORD_1
	v_mul_f16_sdwa v138, v122, v19 dst_sel:DWORD dst_unused:UNUSED_PAD src0_sel:DWORD src1_sel:WORD_1
	v_mul_f16_sdwa v139, v113, v19 dst_sel:DWORD dst_unused:UNUSED_PAD src0_sel:DWORD src1_sel:WORD_1
	s_waitcnt vmcnt(1)
	v_mul_f16_sdwa v140, v124, v20 dst_sel:DWORD dst_unused:UNUSED_PAD src0_sel:DWORD src1_sel:WORD_1
	v_mul_f16_sdwa v141, v115, v20 dst_sel:DWORD dst_unused:UNUSED_PAD src0_sel:DWORD src1_sel:WORD_1
	v_mul_f16_sdwa v142, v125, v21 dst_sel:DWORD dst_unused:UNUSED_PAD src0_sel:DWORD src1_sel:WORD_1
	v_mul_f16_sdwa v143, v52, v21 dst_sel:DWORD dst_unused:UNUSED_PAD src0_sel:DWORD src1_sel:WORD_1
	v_mul_f16_sdwa v144, v126, v22 dst_sel:DWORD dst_unused:UNUSED_PAD src0_sel:DWORD src1_sel:WORD_1
	v_mul_f16_sdwa v145, v117, v22 dst_sel:DWORD dst_unused:UNUSED_PAD src0_sel:DWORD src1_sel:WORD_1
	v_mul_f16_sdwa v146, v127, v23 dst_sel:DWORD dst_unused:UNUSED_PAD src0_sel:DWORD src1_sel:WORD_1
	v_mul_f16_sdwa v147, v114, v23 dst_sel:DWORD dst_unused:UNUSED_PAD src0_sel:DWORD src1_sel:WORD_1
	s_waitcnt vmcnt(0)
	v_mul_f16_sdwa v148, v128, v12 dst_sel:DWORD dst_unused:UNUSED_PAD src0_sel:DWORD src1_sel:WORD_1
	v_mul_f16_sdwa v150, v129, v13 dst_sel:DWORD dst_unused:UNUSED_PAD src0_sel:DWORD src1_sel:WORD_1
	v_mul_f16_sdwa v151, v111, v13 dst_sel:DWORD dst_unused:UNUSED_PAD src0_sel:DWORD src1_sel:WORD_1
	v_mul_f16_sdwa v152, v130, v14 dst_sel:DWORD dst_unused:UNUSED_PAD src0_sel:DWORD src1_sel:WORD_1
	v_mul_f16_sdwa v153, v118, v14 dst_sel:DWORD dst_unused:UNUSED_PAD src0_sel:DWORD src1_sel:WORD_1
	v_mul_f16_sdwa v149, v116, v12 dst_sel:DWORD dst_unused:UNUSED_PAD src0_sel:DWORD src1_sel:WORD_1
	v_mul_f16_sdwa v154, v131, v15 dst_sel:DWORD dst_unused:UNUSED_PAD src0_sel:DWORD src1_sel:WORD_1
	v_mul_f16_sdwa v155, v62, v15 dst_sel:DWORD dst_unused:UNUSED_PAD src0_sel:DWORD src1_sel:WORD_1
	v_fma_f16 v50, v50, v16, -v132
	v_fmac_f16_e32 v133, v109, v16
	v_fma_f16 v51, v51, v17, -v134
	v_fmac_f16_e32 v135, v120, v17
	;; [unrolled: 2-line block ×8, first 2 shown]
	v_fma_f16 v116, v116, v12, -v148
	v_fma_f16 v111, v111, v13, -v150
	v_fmac_f16_e32 v151, v129, v13
	v_fma_f16 v117, v118, v14, -v152
	v_fmac_f16_e32 v153, v130, v14
	v_fmac_f16_e32 v149, v128, v12
	v_fma_f16 v62, v62, v15, -v154
	v_fmac_f16_e32 v155, v131, v15
	v_add_f16_e32 v118, v55, v50
	v_add_f16_e32 v120, v51, v109
	v_sub_f16_e32 v121, v133, v139
	v_sub_f16_e32 v124, v50, v51
	;; [unrolled: 1-line block ×3, first 2 shown]
	v_add_f16_e32 v126, v50, v113
	v_sub_f16_e32 v127, v51, v50
	v_sub_f16_e32 v128, v109, v113
	v_add_f16_e32 v129, v119, v133
	v_add_f16_e32 v130, v135, v137
	v_sub_f16_e32 v131, v50, v113
	v_sub_f16_e32 v50, v133, v135
	v_add_f16_e32 v136, v133, v139
	v_sub_f16_e32 v133, v135, v133
	v_sub_f16_e32 v138, v137, v139
	v_add_f16_e32 v140, v56, v112
	v_add_f16_e32 v142, v52, v115
	;; [unrolled: 1-line block ×6, first 2 shown]
	v_sub_f16_e32 v134, v139, v137
	v_sub_f16_e32 v148, v112, v52
	;; [unrolled: 1-line block ×6, first 2 shown]
	v_add_f16_e32 v164, v49, v116
	v_add_f16_e32 v165, v111, v117
	;; [unrolled: 1-line block ×5, first 2 shown]
	v_sub_f16_e32 v122, v135, v137
	v_sub_f16_e32 v132, v51, v109
	;; [unrolled: 1-line block ×7, first 2 shown]
	v_add_f16_e32 v173, v110, v149
	v_sub_f16_e32 v176, v149, v151
	v_sub_f16_e32 v149, v151, v149
	;; [unrolled: 1-line block ×3, first 2 shown]
	v_add_f16_e32 v51, v118, v51
	v_add_f16_e32 v118, v124, v125
	;; [unrolled: 1-line block ×4, first 2 shown]
	v_fma_f16 v128, -0.5, v130, v119
	v_fmac_f16_e32 v119, -0.5, v136
	v_add_f16_e32 v129, v133, v138
	v_add_f16_e32 v52, v140, v52
	v_fma_f16 v133, -0.5, v142, v56
	v_fmac_f16_e32 v56, -0.5, v152
	v_fma_f16 v120, -0.5, v120, v55
	v_fma_f16 v55, -0.5, v126, v55
	v_add_f16_e32 v126, v157, v143
	v_fma_f16 v135, -0.5, v158, v123
	v_fmac_f16_e32 v123, -0.5, v162
	v_sub_f16_e32 v144, v141, v147
	v_sub_f16_e32 v168, v116, v111
	;; [unrolled: 1-line block ×5, first 2 shown]
	v_add_f16_e32 v127, v50, v134
	v_add_f16_e32 v136, v112, v161
	;; [unrolled: 1-line block ×3, first 2 shown]
	v_fma_f16 v50, -0.5, v165, v49
	v_fma_f16 v111, -0.5, v174, v110
	v_sub_f16_e32 v167, v151, v153
	v_fmac_f16_e32 v49, -0.5, v170
	v_fmac_f16_e32 v110, -0.5, v178
	v_sub_f16_e32 v141, v143, v141
	v_sub_f16_e32 v163, v145, v147
	v_add_f16_e32 v130, v148, v150
	v_add_f16_e32 v134, v154, v156
	;; [unrolled: 1-line block ×5, first 2 shown]
	v_fmamk_f16 v151, v122, 0xbb9c, v55
	v_fmac_f16_e32 v55, 0x3b9c, v122
	v_add_f16_e32 v125, v125, v137
	v_fmamk_f16 v152, v132, 0x3b9c, v119
	v_add_f16_e32 v115, v52, v115
	v_fmamk_f16 v156, v146, 0xbb9c, v56
	;; [unrolled: 2-line block ×3, first 2 shown]
	v_fmamk_f16 v150, v121, 0x3b9c, v120
	v_fmac_f16_e32 v120, 0xbb9c, v121
	v_fmamk_f16 v137, v131, 0xbb9c, v128
	v_fmac_f16_e32 v128, 0x3b9c, v131
	;; [unrolled: 2-line block ×4, first 2 shown]
	v_sub_f16_e32 v169, v62, v117
	v_sub_f16_e32 v177, v155, v153
	v_fmac_f16_e32 v119, 0xbb9c, v132
	v_fmamk_f16 v51, v166, 0x3b9c, v50
	v_fmamk_f16 v109, v116, 0xbb9c, v111
	v_sub_f16_e32 v172, v117, v62
	v_add_f16_e32 v117, v112, v117
	v_fmamk_f16 v52, v167, 0xbb9c, v49
	v_fmamk_f16 v112, v175, 0x3b9c, v110
	v_add_f16_e32 v138, v141, v163
	v_fmac_f16_e32 v56, 0x3b9c, v146
	v_fmac_f16_e32 v123, 0xbb9c, v160
	;; [unrolled: 1-line block ×6, first 2 shown]
	v_add_f16_e32 v113, v149, v113
	v_fmac_f16_e32 v151, 0x38b4, v121
	v_fmac_f16_e32 v55, 0xb8b4, v121
	v_add_f16_e32 v121, v125, v139
	v_fmac_f16_e32 v152, 0xb8b4, v131
	v_add_f16_e32 v114, v115, v114
	;; [unrolled: 2-line block ×4, first 2 shown]
	v_fmac_f16_e32 v120, 0xb8b4, v122
	v_fmac_f16_e32 v128, 0x38b4, v132
	;; [unrolled: 1-line block ×6, first 2 shown]
	v_add_f16_e32 v140, v168, v169
	v_add_f16_e32 v143, v176, v177
	v_fmac_f16_e32 v119, 0x38b4, v131
	v_fmac_f16_e32 v154, 0x38b4, v146
	;; [unrolled: 1-line block ×5, first 2 shown]
	v_add_f16_e32 v141, v171, v172
	v_fmac_f16_e32 v52, 0x38b4, v166
	v_fmac_f16_e32 v112, 0xb8b4, v116
	;; [unrolled: 1-line block ×12, first 2 shown]
	v_pack_b32_f16 v113, v113, v121
	v_pack_b32_f16 v114, v114, v115
	v_add_f16_e32 v62, v117, v62
	v_add_f16_e32 v117, v142, v155
	v_fmac_f16_e32 v120, 0x34f2, v118
	v_fmac_f16_e32 v128, 0x34f2, v127
	;; [unrolled: 1-line block ×20, first 2 shown]
	v_pack_b32_f16 v116, v151, v152
	ds_write2_b32 v63, v113, v114 offset1:110
	v_pack_b32_f16 v114, v156, v157
	v_pack_b32_f16 v62, v62, v117
	;; [unrolled: 1-line block ×12, first 2 shown]
	ds_write2_b32 v57, v116, v114 offset0:20 offset1:130
	ds_write2_b32 v58, v117, v118 offset0:40 offset1:150
	;; [unrolled: 1-line block ×6, first 2 shown]
	ds_write_b32 v63, v122 offset:6160
	s_waitcnt lgkmcnt(0)
	s_barrier
	buffer_gl0_inv
	s_clause 0x1
	global_load_dword v61, v[31:32], off offset:456
	global_load_dword v62, v[53:54], off offset:600
	v_add_co_u32 v55, s1, 0x2000, v28
	v_add_co_ci_u32_e64 v56, s1, 0, v29, s1
	v_add_co_u32 v59, s1, 0x2800, v28
	v_add_co_ci_u32_e64 v60, s1, 0, v29, s1
	s_clause 0x5
	global_load_dword v119, v[53:54], off offset:1200
	global_load_dword v120, v[53:54], off offset:1800
	;; [unrolled: 1-line block ×6, first 2 shown]
	v_add_co_u32 v55, s1, 0x3000, v28
	v_add_co_ci_u32_e64 v56, s1, 0, v29, s1
	s_clause 0x2
	global_load_dword v125, v[59:60], off offset:1160
	global_load_dword v126, v[59:60], off offset:1760
	;; [unrolled: 1-line block ×3, first 2 shown]
	ds_read2_b32 v[55:56], v63 offset1:150
	s_waitcnt lgkmcnt(0)
	v_lshrrev_b32_e32 v59, 16, v55
	v_lshrrev_b32_e32 v60, 16, v56
	s_waitcnt vmcnt(10)
	v_mul_f16_sdwa v113, v59, v61 dst_sel:DWORD dst_unused:UNUSED_PAD src0_sel:DWORD src1_sel:WORD_1
	v_mul_f16_sdwa v114, v55, v61 dst_sel:DWORD dst_unused:UNUSED_PAD src0_sel:DWORD src1_sel:WORD_1
	s_waitcnt vmcnt(9)
	v_mul_f16_sdwa v115, v60, v62 dst_sel:DWORD dst_unused:UNUSED_PAD src0_sel:DWORD src1_sel:WORD_1
	v_mul_f16_sdwa v116, v56, v62 dst_sel:DWORD dst_unused:UNUSED_PAD src0_sel:DWORD src1_sel:WORD_1
	v_fma_f16 v55, v55, v61, -v113
	v_fmac_f16_e32 v114, v59, v61
	v_fma_f16 v56, v56, v62, -v115
	v_fmac_f16_e32 v116, v60, v62
	v_add_nc_u32_e32 v61, 0xe00, v63
	v_add_nc_u32_e32 v62, 0x1200, v63
	v_pack_b32_f16 v59, v55, v114
	v_add_nc_u32_e32 v55, 0x400, v63
	v_pack_b32_f16 v60, v56, v116
	v_add_nc_u32_e32 v56, 0x800, v63
	ds_write2_b32 v63, v59, v60 offset1:150
	ds_read2_b32 v[59:60], v55 offset0:44 offset1:194
	ds_read2_b32 v[113:114], v56 offset0:88 offset1:238
	;; [unrolled: 1-line block ×4, first 2 shown]
	ds_read_b32 v128, v63 offset:6000
	s_waitcnt lgkmcnt(4)
	v_lshrrev_b32_e32 v129, 16, v59
	s_waitcnt vmcnt(8)
	v_mul_f16_sdwa v130, v59, v119 dst_sel:DWORD dst_unused:UNUSED_PAD src0_sel:DWORD src1_sel:WORD_1
	v_lshrrev_b32_e32 v131, 16, v60
	s_waitcnt vmcnt(7)
	v_mul_f16_sdwa v132, v60, v120 dst_sel:DWORD dst_unused:UNUSED_PAD src0_sel:DWORD src1_sel:WORD_1
	s_waitcnt lgkmcnt(3)
	v_lshrrev_b32_e32 v133, 16, v113
	s_waitcnt vmcnt(6)
	v_mul_f16_sdwa v134, v113, v121 dst_sel:DWORD dst_unused:UNUSED_PAD src0_sel:DWORD src1_sel:WORD_1
	v_lshrrev_b32_e32 v135, 16, v114
	s_waitcnt vmcnt(5)
	v_mul_f16_sdwa v136, v114, v122 dst_sel:DWORD dst_unused:UNUSED_PAD src0_sel:DWORD src1_sel:WORD_1
	;; [unrolled: 7-line block ×4, first 2 shown]
	s_waitcnt lgkmcnt(0)
	v_lshrrev_b32_e32 v145, 16, v128
	v_mul_f16_sdwa v147, v129, v119 dst_sel:DWORD dst_unused:UNUSED_PAD src0_sel:DWORD src1_sel:WORD_1
	v_fmac_f16_e32 v130, v129, v119
	v_mul_f16_sdwa v129, v131, v120 dst_sel:DWORD dst_unused:UNUSED_PAD src0_sel:DWORD src1_sel:WORD_1
	v_fmac_f16_e32 v132, v131, v120
	;; [unrolled: 2-line block ×7, first 2 shown]
	v_mul_f16_sdwa v141, v143, v126 dst_sel:DWORD dst_unused:UNUSED_PAD src0_sel:DWORD src1_sel:WORD_1
	s_waitcnt vmcnt(0)
	v_mul_f16_sdwa v146, v128, v127 dst_sel:DWORD dst_unused:UNUSED_PAD src0_sel:DWORD src1_sel:WORD_1
	v_fmac_f16_e32 v144, v143, v126
	v_mul_f16_sdwa v143, v145, v127 dst_sel:DWORD dst_unused:UNUSED_PAD src0_sel:DWORD src1_sel:WORD_1
	v_fma_f16 v59, v59, v119, -v147
	v_fma_f16 v60, v60, v120, -v129
	;; [unrolled: 1-line block ×8, first 2 shown]
	v_fmac_f16_e32 v146, v145, v127
	v_fma_f16 v119, v128, v127, -v143
	v_pack_b32_f16 v59, v59, v130
	v_pack_b32_f16 v60, v60, v132
	;; [unrolled: 1-line block ×9, first 2 shown]
	ds_write2_b32 v55, v59, v60 offset0:44 offset1:194
	ds_write2_b32 v56, v113, v114 offset0:88 offset1:238
	;; [unrolled: 1-line block ×4, first 2 shown]
	ds_write_b32 v63, v119 offset:6000
	s_and_saveexec_b32 s2, vcc_lo
	s_cbranch_execz .LBB0_13
; %bb.12:
	s_clause 0x2
	global_load_dword v115, v[53:54], off offset:440
	global_load_dword v116, v[53:54], off offset:1040
	;; [unrolled: 1-line block ×3, first 2 shown]
	v_add_co_u32 v59, s1, 0x800, v53
	v_add_co_ci_u32_e64 v60, s1, 0, v54, s1
	v_add_co_u32 v113, s1, 0x1000, v53
	v_add_co_ci_u32_e64 v114, s1, 0, v54, s1
	;; [unrolled: 2-line block ×3, first 2 shown]
	s_clause 0x7
	global_load_dword v118, v[59:60], off offset:192
	global_load_dword v119, v[59:60], off offset:792
	;; [unrolled: 1-line block ×8, first 2 shown]
	v_add_nc_u32_e32 v59, 0x100, v63
	ds_read2_b32 v[53:54], v59 offset0:46 offset1:196
	s_waitcnt lgkmcnt(0)
	v_lshrrev_b32_e32 v60, 16, v53
	v_lshrrev_b32_e32 v113, 16, v54
	s_waitcnt vmcnt(10)
	v_mul_f16_sdwa v114, v60, v115 dst_sel:DWORD dst_unused:UNUSED_PAD src0_sel:DWORD src1_sel:WORD_1
	v_mul_f16_sdwa v126, v53, v115 dst_sel:DWORD dst_unused:UNUSED_PAD src0_sel:DWORD src1_sel:WORD_1
	s_waitcnt vmcnt(9)
	v_mul_f16_sdwa v127, v113, v116 dst_sel:DWORD dst_unused:UNUSED_PAD src0_sel:DWORD src1_sel:WORD_1
	v_mul_f16_sdwa v128, v54, v116 dst_sel:DWORD dst_unused:UNUSED_PAD src0_sel:DWORD src1_sel:WORD_1
	v_fma_f16 v53, v53, v115, -v114
	v_fmac_f16_e32 v126, v60, v115
	v_fma_f16 v54, v54, v116, -v127
	v_fmac_f16_e32 v128, v113, v116
	v_pack_b32_f16 v53, v53, v126
	v_add_nc_u32_e32 v126, 0xf00, v63
	v_pack_b32_f16 v54, v54, v128
	ds_write2_b32 v59, v53, v54 offset0:46 offset1:196
	ds_read2_b32 v[53:54], v35 offset0:26 offset1:176
	ds_read2_b32 v[59:60], v57 offset0:70 offset1:220
	;; [unrolled: 1-line block ×4, first 2 shown]
	ds_read_b32 v127, v63 offset:6440
	s_waitcnt lgkmcnt(3)
	v_lshrrev_b32_e32 v132, 16, v59
	s_waitcnt vmcnt(6)
	v_mul_f16_sdwa v133, v59, v119 dst_sel:DWORD dst_unused:UNUSED_PAD src0_sel:DWORD src1_sel:WORD_1
	v_lshrrev_b32_e32 v128, 16, v53
	v_mul_f16_sdwa v129, v53, v117 dst_sel:DWORD dst_unused:UNUSED_PAD src0_sel:DWORD src1_sel:WORD_1
	v_lshrrev_b32_e32 v130, 16, v54
	;; [unrolled: 2-line block ×3, first 2 shown]
	s_waitcnt vmcnt(5)
	v_mul_f16_sdwa v135, v60, v120 dst_sel:DWORD dst_unused:UNUSED_PAD src0_sel:DWORD src1_sel:WORD_1
	s_waitcnt lgkmcnt(2)
	v_lshrrev_b32_e32 v136, 16, v113
	s_waitcnt vmcnt(4)
	v_mul_f16_sdwa v137, v113, v121 dst_sel:DWORD dst_unused:UNUSED_PAD src0_sel:DWORD src1_sel:WORD_1
	v_lshrrev_b32_e32 v138, 16, v114
	s_waitcnt vmcnt(3)
	v_mul_f16_sdwa v139, v114, v122 dst_sel:DWORD dst_unused:UNUSED_PAD src0_sel:DWORD src1_sel:WORD_1
	s_waitcnt lgkmcnt(1)
	v_lshrrev_b32_e32 v140, 16, v115
	s_waitcnt vmcnt(2)
	v_mul_f16_sdwa v141, v115, v123 dst_sel:DWORD dst_unused:UNUSED_PAD src0_sel:DWORD src1_sel:WORD_1
	v_lshrrev_b32_e32 v142, 16, v116
	s_waitcnt vmcnt(1)
	v_mul_f16_sdwa v143, v116, v124 dst_sel:DWORD dst_unused:UNUSED_PAD src0_sel:DWORD src1_sel:WORD_1
	s_waitcnt lgkmcnt(0)
	v_lshrrev_b32_e32 v144, 16, v127
	v_mul_f16_sdwa v146, v128, v117 dst_sel:DWORD dst_unused:UNUSED_PAD src0_sel:DWORD src1_sel:WORD_1
	v_fmac_f16_e32 v129, v128, v117
	v_mul_f16_sdwa v128, v130, v118 dst_sel:DWORD dst_unused:UNUSED_PAD src0_sel:DWORD src1_sel:WORD_1
	v_fmac_f16_e32 v131, v130, v118
	;; [unrolled: 2-line block ×7, first 2 shown]
	v_mul_f16_sdwa v140, v142, v124 dst_sel:DWORD dst_unused:UNUSED_PAD src0_sel:DWORD src1_sel:WORD_1
	s_waitcnt vmcnt(0)
	v_mul_f16_sdwa v145, v127, v125 dst_sel:DWORD dst_unused:UNUSED_PAD src0_sel:DWORD src1_sel:WORD_1
	v_fmac_f16_e32 v143, v142, v124
	v_mul_f16_sdwa v142, v144, v125 dst_sel:DWORD dst_unused:UNUSED_PAD src0_sel:DWORD src1_sel:WORD_1
	v_fma_f16 v53, v53, v117, -v146
	v_fma_f16 v54, v54, v118, -v128
	;; [unrolled: 1-line block ×8, first 2 shown]
	v_fmac_f16_e32 v145, v144, v125
	v_fma_f16 v117, v127, v125, -v142
	v_pack_b32_f16 v53, v53, v129
	v_pack_b32_f16 v54, v54, v131
	;; [unrolled: 1-line block ×9, first 2 shown]
	ds_write2_b32 v35, v53, v54 offset0:26 offset1:176
	ds_write2_b32 v57, v59, v60 offset0:70 offset1:220
	;; [unrolled: 1-line block ×4, first 2 shown]
	ds_write_b32 v63, v117 offset:6440
.LBB0_13:
	s_or_b32 exec_lo, exec_lo, s2
	s_waitcnt lgkmcnt(0)
	s_barrier
	buffer_gl0_inv
	ds_read2_b32 v[53:54], v63 offset1:150
	ds_read2_b32 v[59:60], v55 offset0:44 offset1:194
	ds_read2_b32 v[55:56], v56 offset0:88 offset1:238
	ds_read2_b32 v[57:58], v61 offset0:4 offset1:154
	ds_read2_b32 v[61:62], v62 offset0:48 offset1:198
	ds_read_b32 v157, v63 offset:6000
	v_lshrrev_b32_e32 v35, 16, v83
	s_and_saveexec_b32 s1, vcc_lo
	s_cbranch_execz .LBB0_15
; %bb.14:
	v_add_nc_u32_e32 v33, 0x100, v63
	v_add_nc_u32_e32 v34, 0x600, v63
	;; [unrolled: 1-line block ×3, first 2 shown]
	ds_read2_b32 v[51:52], v33 offset0:46 offset1:196
	v_add_nc_u32_e32 v33, 0xf00, v63
	ds_read2_b32 v[49:50], v34 offset0:26 offset1:176
	v_add_nc_u32_e32 v34, 0x1400, v63
	ds_read2_b32 v[47:48], v35 offset0:70 offset1:220
	ds_read2_b32 v[35:36], v33 offset0:50 offset1:200
	;; [unrolled: 1-line block ×3, first 2 shown]
	ds_read_b32 v78, v63 offset:6440
	s_waitcnt lgkmcnt(5)
	v_lshrrev_b32_e32 v109, 16, v51
	v_lshrrev_b32_e32 v112, 16, v52
	s_waitcnt lgkmcnt(4)
	v_lshrrev_b32_e32 v110, 16, v49
	v_lshrrev_b32_e32 v111, 16, v50
	;; [unrolled: 3-line block ×5, first 2 shown]
	s_waitcnt lgkmcnt(0)
	v_bfi_b32 v48, 0xffff, v48, v78
.LBB0_15:
	s_or_b32 exec_lo, exec_lo, s1
	v_sub_f16_sdwa v144, v112, v48 dst_sel:DWORD dst_unused:UNUSED_PAD src0_sel:DWORD src1_sel:WORD_1
	v_sub_f16_e32 v119, v52, v78
	v_add_f16_e32 v117, v78, v52
	v_add_f16_sdwa v150, v48, v112 dst_sel:DWORD dst_unused:UNUSED_PAD src0_sel:WORD_1 src1_sel:DWORD
	v_sub_f16_e32 v145, v110, v79
	v_mul_f16_e32 v125, 0xbbeb, v144
	v_mul_f16_e32 v126, 0xbbeb, v119
	;; [unrolled: 1-line block ×3, first 2 shown]
	v_sub_f16_e32 v120, v49, v34
	v_add_f16_e32 v118, v34, v49
	v_fmamk_f16 v114, v117, 0xb08e, v125
	v_fma_f16 v115, v150, 0xb08e, -v126
	v_mul_f16_e32 v127, 0x3482, v145
	v_fma_f16 v121, v150, 0xb93d, -v137
	v_add_f16_e32 v152, v79, v110
	v_mul_f16_e32 v128, 0x3482, v120
	v_sub_f16_e32 v148, v111, v80
	v_mul_f16_e32 v133, 0xba0c, v144
	v_add_f16_e32 v114, v51, v114
	v_add_f16_e32 v115, v109, v115
	v_fmamk_f16 v122, v118, 0xbbad, v127
	v_add_f16_e32 v123, v109, v121
	v_fma_f16 v124, v152, 0xbbad, -v128
	v_add_f16_e32 v121, v33, v50
	v_mul_f16_e32 v130, 0x3b47, v148
	v_fmamk_f16 v116, v117, 0xb93d, v133
	v_mul_f16_e32 v136, 0x3beb, v145
	v_add_f16_e32 v114, v122, v114
	v_sub_f16_e32 v122, v50, v33
	v_mul_f16_e32 v139, 0x3beb, v120
	v_add_f16_e32 v115, v124, v115
	v_fmamk_f16 v124, v121, 0x36a6, v130
	s_waitcnt lgkmcnt(5)
	v_pk_add_f16 v113, v53, v54
	v_add_f16_e32 v116, v51, v116
	v_fmamk_f16 v129, v118, 0xb08e, v136
	v_add_f16_e32 v154, v80, v111
	v_mul_f16_e32 v132, 0x3b47, v122
	v_fma_f16 v131, v152, 0xb08e, -v139
	v_add_f16_e32 v114, v124, v114
	v_mul_f16_e32 v141, 0xb853, v122
	v_sub_f16_e32 v124, v47, v36
	v_add_f16_e32 v116, v129, v116
	v_fma_f16 v129, v154, 0x36a6, -v132
	v_add_f16_e32 v131, v131, v123
	v_mul_f16_e32 v138, 0xb853, v148
	v_sub_f16_e32 v151, v108, v82
	v_fma_f16 v140, v154, 0x3abb, -v141
	v_add_f16_e32 v155, v82, v108
	v_mul_f16_e32 v135, 0xb853, v124
	s_waitcnt lgkmcnt(4)
	v_pk_add_f16 v113, v113, v59
	v_add_f16_e32 v115, v129, v115
	v_fmamk_f16 v129, v121, 0x3abb, v138
	v_add_f16_e32 v123, v36, v47
	v_mul_f16_e32 v134, 0xb853, v151
	v_mul_f16_e32 v143, 0xb482, v151
	v_add_f16_e32 v142, v140, v131
	v_fma_f16 v131, v155, 0x3abb, -v135
	v_mul_f16_e32 v147, 0xb482, v124
	v_pk_add_f16 v113, v113, v60
	v_add_f16_e32 v116, v129, v116
	v_fmamk_f16 v129, v123, 0x3abb, v134
	v_fmamk_f16 v140, v123, 0xbbad, v143
	v_add_f16_e32 v115, v131, v115
	v_sub_f16_e32 v153, v83, v85
	v_fma_f16 v146, v155, 0xbbad, -v147
	s_waitcnt lgkmcnt(3)
	v_pk_add_f16 v113, v113, v55
	v_sub_f16_e32 v131, v48, v35
	v_add_f16_e32 v114, v129, v114
	v_add_f16_e32 v116, v140, v116
	;; [unrolled: 1-line block ×3, first 2 shown]
	v_mul_f16_e32 v140, 0xba0c, v153
	v_add_f16_e32 v158, v146, v142
	v_add_f16_e32 v156, v85, v83
	v_pk_add_f16 v113, v113, v56
	v_mul_f16_e32 v142, 0xba0c, v131
	v_fmamk_f16 v159, v129, 0xb93d, v140
	v_mul_f16_e32 v146, 0x3b47, v153
	v_mul_f16_e32 v149, 0x3b47, v131
	s_waitcnt lgkmcnt(2)
	v_pk_add_f16 v160, v113, v57
	v_fma_f16 v161, v156, 0xb93d, -v142
	v_add_f16_e32 v113, v159, v114
	v_fmamk_f16 v159, v129, 0x36a6, v146
	v_fma_f16 v162, v156, 0x36a6, -v149
	v_pk_add_f16 v160, v160, v58
	v_add_f16_e32 v114, v161, v115
	s_waitcnt lgkmcnt(0)
	v_pk_add_f16 v161, v54, v157 neg_lo:[0,1] neg_hi:[0,1]
	v_add_f16_e32 v115, v159, v116
	v_add_f16_e32 v116, v162, v158
	v_pk_add_f16 v158, v160, v61
	v_pk_add_f16 v54, v157, v54
	v_pk_mul_f16 v159, 0xb853, v161 op_sel_hi:[0,1]
	v_pk_add_f16 v174, v59, v62 neg_lo:[0,1] neg_hi:[0,1]
	v_mov_b32_e32 v160, 0xbb47
	v_pk_add_f16 v158, v158, v62
	v_pk_add_f16 v59, v62, v59
	v_pk_fma_f16 v162, 0x3abb, v54, v159 op_sel:[0,0,1] op_sel_hi:[0,1,0]
	v_pk_fma_f16 v159, 0x3abb, v54, v159 op_sel:[0,0,1] op_sel_hi:[0,1,0] neg_lo:[0,0,1] neg_hi:[0,0,1]
	v_pk_mul_f16 v62, 0xbb47, v174 op_sel_hi:[0,1]
	v_mul_f16_sdwa v160, v161, v160 dst_sel:DWORD dst_unused:UNUSED_PAD src0_sel:WORD_1 src1_sel:DWORD
	v_mov_b32_e32 v172, 0xba0c
	v_pk_add_f16 v157, v158, v157
	v_bfi_b32 v163, 0xffff, v162, v159
	v_pk_fma_f16 v179, 0x36a6, v59, v62 op_sel:[0,0,1] op_sel_hi:[0,1,0]
	v_pk_fma_f16 v62, 0x36a6, v59, v62 op_sel:[0,0,1] op_sel_hi:[0,1,0] neg_lo:[0,0,1] neg_hi:[0,0,1]
	v_mov_b32_e32 v158, 0x36a6
	v_fmamk_f16 v164, v54, 0x36a6, v160
	v_mov_b32_e32 v165, 0xbbeb
	v_pk_add_f16 v163, v53, v163
	v_bfi_b32 v180, 0xffff, v179, v62
	v_mul_f16_sdwa v181, v174, v172 dst_sel:DWORD dst_unused:UNUSED_PAD src0_sel:WORD_1 src1_sel:DWORD
	v_mov_b32_e32 v166, 0xb08e
	v_mul_f16_sdwa v167, v54, v158 dst_sel:DWORD dst_unused:UNUSED_PAD src0_sel:WORD_1 src1_sel:DWORD
	v_add_f16_e32 v164, v53, v164
	v_mul_f16_sdwa v165, v161, v165 dst_sel:DWORD dst_unused:UNUSED_PAD src0_sel:WORD_1 src1_sel:DWORD
	v_fma_f16 v160, v54, 0x36a6, -v160
	v_mov_b32_e32 v173, 0xb93d
	v_pk_add_f16 v163, v180, v163
	v_fmamk_f16 v180, v59, 0xb93d, v181
	v_mov_b32_e32 v183, 0x3482
	v_mul_f16_sdwa v168, v54, v166 dst_sel:DWORD dst_unused:UNUSED_PAD src0_sel:WORD_1 src1_sel:DWORD
	v_fmamk_f16 v169, v161, 0x3b47, v167
	v_fmamk_f16 v170, v54, 0xb08e, v165
	v_add_f16_e32 v160, v53, v160
	v_fma_f16 v165, v54, 0xb08e, -v165
	v_mul_f16_sdwa v182, v59, v173 dst_sel:DWORD dst_unused:UNUSED_PAD src0_sel:WORD_1 src1_sel:DWORD
	v_mov_b32_e32 v184, 0xbbad
	v_fma_f16 v181, v59, 0xb93d, -v181
	v_add_f16_e32 v164, v180, v164
	v_mul_f16_sdwa v180, v174, v183 dst_sel:DWORD dst_unused:UNUSED_PAD src0_sel:WORD_1 src1_sel:DWORD
	v_fmac_f16_e32 v167, 0xbb47, v161
	v_fmamk_f16 v171, v161, 0x3beb, v168
	v_add_f16_sdwa v169, v53, v169 dst_sel:DWORD dst_unused:UNUSED_PAD src0_sel:WORD_1 src1_sel:DWORD
	v_add_f16_e32 v170, v53, v170
	v_mul_f16_sdwa v175, v161, v172 dst_sel:DWORD dst_unused:UNUSED_PAD src0_sel:WORD_1 src1_sel:DWORD
	v_add_f16_e32 v165, v53, v165
	v_fmamk_f16 v185, v174, 0x3a0c, v182
	v_mul_f16_sdwa v186, v59, v184 dst_sel:DWORD dst_unused:UNUSED_PAD src0_sel:WORD_1 src1_sel:DWORD
	v_add_f16_e32 v160, v181, v160
	v_fmamk_f16 v181, v59, 0xbbad, v180
	v_mov_b32_e32 v187, 0x3beb
	v_fma_f16 v180, v59, 0xbbad, -v180
	v_add_f16_sdwa v167, v53, v167 dst_sel:DWORD dst_unused:UNUSED_PAD src0_sel:WORD_1 src1_sel:DWORD
	v_add_f16_sdwa v171, v53, v171 dst_sel:DWORD dst_unused:UNUSED_PAD src0_sel:WORD_1 src1_sel:DWORD
	v_fmac_f16_e32 v168, 0xbbeb, v161
	v_mul_f16_sdwa v176, v54, v173 dst_sel:DWORD dst_unused:UNUSED_PAD src0_sel:WORD_1 src1_sel:DWORD
	v_fmamk_f16 v177, v54, 0xb93d, v175
	v_add_f16_e32 v169, v185, v169
	v_fmac_f16_e32 v182, 0xba0c, v174
	v_fmamk_f16 v185, v174, 0xb482, v186
	v_add_f16_e32 v170, v181, v170
	v_mul_f16_sdwa v181, v174, v187 dst_sel:DWORD dst_unused:UNUSED_PAD src0_sel:WORD_1 src1_sel:DWORD
	v_add_f16_e32 v165, v180, v165
	v_pk_add_f16 v180, v60, v61 neg_lo:[0,1] neg_hi:[0,1]
	v_add_f16_sdwa v168, v53, v168 dst_sel:DWORD dst_unused:UNUSED_PAD src0_sel:WORD_1 src1_sel:DWORD
	v_fmamk_f16 v178, v161, 0x3a0c, v176
	v_add_f16_e32 v177, v53, v177
	v_fma_f16 v175, v54, 0xb93d, -v175
	v_fmac_f16_e32 v176, 0xba0c, v161
	v_add_f16_e32 v167, v182, v167
	v_add_f16_e32 v171, v185, v171
	v_fmac_f16_e32 v186, 0x3482, v174
	v_mul_f16_sdwa v182, v59, v166 dst_sel:DWORD dst_unused:UNUSED_PAD src0_sel:WORD_1 src1_sel:DWORD
	v_fmamk_f16 v185, v59, 0xb08e, v181
	v_pk_add_f16 v60, v61, v60
	v_pk_mul_f16 v61, 0xbbeb, v180 op_sel_hi:[0,1]
	v_add_f16_sdwa v178, v53, v178 dst_sel:DWORD dst_unused:UNUSED_PAD src0_sel:WORD_1 src1_sel:DWORD
	v_add_f16_e32 v175, v53, v175
	v_add_f16_sdwa v176, v53, v176 dst_sel:DWORD dst_unused:UNUSED_PAD src0_sel:WORD_1 src1_sel:DWORD
	v_add_f16_e32 v168, v186, v168
	v_fmamk_f16 v186, v174, 0xbbeb, v182
	v_add_f16_e32 v177, v185, v177
	v_fma_f16 v181, v59, 0xb08e, -v181
	v_pk_fma_f16 v185, 0xb08e, v60, v61 op_sel:[0,0,1] op_sel_hi:[0,1,0]
	v_pk_fma_f16 v61, 0xb08e, v60, v61 op_sel:[0,0,1] op_sel_hi:[0,1,0] neg_lo:[0,0,1] neg_hi:[0,0,1]
	v_fmac_f16_e32 v182, 0x3beb, v174
	v_mul_f16_sdwa v183, v180, v183 dst_sel:DWORD dst_unused:UNUSED_PAD src0_sel:WORD_1 src1_sel:DWORD
	v_add_f16_e32 v178, v186, v178
	v_add_f16_e32 v175, v181, v175
	v_bfi_b32 v181, 0xffff, v185, v61
	v_mul_f16_sdwa v186, v60, v184 dst_sel:DWORD dst_unused:UNUSED_PAD src0_sel:WORD_1 src1_sel:DWORD
	v_add_f16_e32 v176, v182, v176
	v_fmamk_f16 v182, v60, 0xbbad, v183
	v_mov_b32_e32 v188, 0x3b47
	v_pk_add_f16 v163, v181, v163
	v_fmamk_f16 v181, v180, 0xb482, v186
	v_fma_f16 v183, v60, 0xbbad, -v183
	v_add_f16_e32 v164, v182, v164
	v_mul_f16_sdwa v182, v180, v188 dst_sel:DWORD dst_unused:UNUSED_PAD src0_sel:WORD_1 src1_sel:DWORD
	v_mul_f16_sdwa v189, v60, v158 dst_sel:DWORD dst_unused:UNUSED_PAD src0_sel:WORD_1 src1_sel:DWORD
	v_add_f16_e32 v169, v181, v169
	v_add_f16_e32 v160, v183, v160
	v_fmac_f16_e32 v186, 0x3482, v180
	v_fmamk_f16 v181, v60, 0x36a6, v182
	v_fmamk_f16 v183, v180, 0xbb47, v189
	v_mov_b32_e32 v190, 0xb853
	v_mov_b32_e32 v191, 0x3abb
	v_add_f16_e32 v167, v186, v167
	v_add_f16_e32 v170, v181, v170
	;; [unrolled: 1-line block ×3, first 2 shown]
	v_mul_f16_sdwa v181, v180, v190 dst_sel:DWORD dst_unused:UNUSED_PAD src0_sel:WORD_1 src1_sel:DWORD
	v_mul_f16_sdwa v183, v60, v191 dst_sel:DWORD dst_unused:UNUSED_PAD src0_sel:WORD_1 src1_sel:DWORD
	v_pk_add_f16 v186, v55, v58 neg_lo:[0,1] neg_hi:[0,1]
	v_pk_add_f16 v55, v58, v55
	v_fma_f16 v182, v60, 0x36a6, -v182
	v_fmamk_f16 v192, v60, 0x3abb, v181
	v_fmamk_f16 v193, v180, 0x3853, v183
	v_pk_mul_f16 v58, 0xba0c, v186 op_sel_hi:[0,1]
	v_fma_f16 v181, v60, 0x3abb, -v181
	v_mul_f16_sdwa v187, v186, v187 dst_sel:DWORD dst_unused:UNUSED_PAD src0_sel:WORD_1 src1_sel:DWORD
	v_fmac_f16_e32 v183, 0xb853, v180
	v_mul_f16_sdwa v166, v55, v166 dst_sel:DWORD dst_unused:UNUSED_PAD src0_sel:WORD_1 src1_sel:DWORD
	v_fmac_f16_e32 v189, 0x3b47, v180
	v_add_f16_e32 v165, v182, v165
	v_pk_fma_f16 v182, 0xb93d, v55, v58 op_sel:[0,0,1] op_sel_hi:[0,1,0]
	v_pk_fma_f16 v58, 0xb93d, v55, v58 op_sel:[0,0,1] op_sel_hi:[0,1,0] neg_lo:[0,0,1] neg_hi:[0,0,1]
	v_add_f16_e32 v175, v181, v175
	v_fmamk_f16 v181, v55, 0xb08e, v187
	v_add_f16_e32 v176, v183, v176
	v_fmamk_f16 v183, v186, 0xbbeb, v166
	v_add_f16_e32 v168, v189, v168
	v_bfi_b32 v189, 0xffff, v182, v58
	v_fma_f16 v187, v55, 0xb08e, -v187
	v_add_f16_e32 v164, v181, v164
	v_mul_f16_sdwa v181, v186, v190 dst_sel:DWORD dst_unused:UNUSED_PAD src0_sel:WORD_1 src1_sel:DWORD
	v_add_f16_e32 v169, v183, v169
	v_mul_f16_sdwa v183, v55, v191 dst_sel:DWORD dst_unused:UNUSED_PAD src0_sel:WORD_1 src1_sel:DWORD
	v_pk_add_f16 v163, v189, v163
	v_add_f16_e32 v160, v187, v160
	v_fmac_f16_e32 v166, 0x3beb, v186
	v_fmamk_f16 v187, v55, 0x3abb, v181
	v_mov_b32_e32 v189, 0xb482
	v_fmamk_f16 v190, v186, 0x3853, v183
	v_fma_f16 v181, v55, 0x3abb, -v181
	v_fmac_f16_e32 v183, 0xb853, v186
	v_add_f16_e32 v166, v166, v167
	v_add_f16_e32 v167, v187, v170
	v_mul_f16_sdwa v170, v186, v189 dst_sel:DWORD dst_unused:UNUSED_PAD src0_sel:WORD_1 src1_sel:DWORD
	v_add_f16_e32 v165, v181, v165
	v_pk_add_f16 v181, v56, v57 neg_lo:[0,1] neg_hi:[0,1]
	v_add_f16_e32 v168, v183, v168
	v_mov_b32_e32 v183, 0x3853
	v_add_f16_e32 v177, v192, v177
	v_fmamk_f16 v187, v55, 0xbbad, v170
	v_mul_f16_sdwa v184, v55, v184 dst_sel:DWORD dst_unused:UNUSED_PAD src0_sel:WORD_1 src1_sel:DWORD
	v_pk_add_f16 v56, v57, v56
	v_fma_f16 v170, v55, 0xbbad, -v170
	v_mul_f16_sdwa v183, v181, v183 dst_sel:DWORD dst_unused:UNUSED_PAD src0_sel:WORD_1 src1_sel:DWORD
	v_pk_mul_f16 v57, 0xb482, v181 op_sel_hi:[0,1]
	v_add_f16_e32 v177, v187, v177
	v_fmamk_f16 v187, v186, 0x3482, v184
	v_fmac_f16_e32 v184, 0xb482, v186
	v_add_f16_e32 v170, v170, v175
	v_fmamk_f16 v175, v56, 0x3abb, v183
	v_mul_f16_sdwa v172, v181, v172 dst_sel:DWORD dst_unused:UNUSED_PAD src0_sel:WORD_1 src1_sel:DWORD
	v_fma_f16 v183, v56, 0x3abb, -v183
	v_add_f16_e32 v178, v193, v178
	v_add_f16_e32 v171, v190, v171
	v_pk_fma_f16 v189, 0xbbad, v56, v57 op_sel:[0,0,1] op_sel_hi:[0,1,0]
	v_pk_fma_f16 v57, 0xbbad, v56, v57 op_sel:[0,0,1] op_sel_hi:[0,1,0] neg_lo:[0,0,1] neg_hi:[0,0,1]
	v_mul_f16_sdwa v190, v56, v191 dst_sel:DWORD dst_unused:UNUSED_PAD src0_sel:WORD_1 src1_sel:DWORD
	v_add_f16_e32 v176, v184, v176
	v_fmamk_f16 v184, v56, 0xb93d, v172
	v_add_f16_e32 v160, v183, v160
	v_fma_f16 v172, v56, 0xb93d, -v172
	v_mul_f16_sdwa v183, v181, v188 dst_sel:DWORD dst_unused:UNUSED_PAD src0_sel:WORD_1 src1_sel:DWORD
	v_add_f16_e32 v178, v187, v178
	v_bfi_b32 v187, 0xffff, v189, v57
	v_add_f16_e32 v164, v175, v164
	v_fmamk_f16 v175, v181, 0xb853, v190
	v_mul_f16_sdwa v173, v56, v173 dst_sel:DWORD dst_unused:UNUSED_PAD src0_sel:WORD_1 src1_sel:DWORD
	v_add_f16_e32 v165, v172, v165
	v_fmamk_f16 v172, v56, 0x36a6, v183
	v_pk_mul_f16 v54, 0xbbad, v54 op_sel_hi:[0,1]
	v_pk_add_f16 v163, v187, v163
	v_add_f16_e32 v169, v175, v169
	v_fmamk_f16 v175, v181, 0x3a0c, v173
	v_add_f16_e32 v172, v172, v177
	v_pk_fma_f16 v177, 0xb482, v161, v54 op_sel:[0,0,1] op_sel_hi:[0,1,0]
	v_pk_mul_f16 v59, 0x3abb, v59 op_sel_hi:[0,1]
	s_barrier
	buffer_gl0_inv
	v_add_f16_e32 v167, v184, v167
	v_add_f16_e32 v171, v175, v171
	ds_write2_b32 v76, v157, v163 offset1:1
	v_alignbit_b32 v157, s0, v177, 16
	v_pk_fma_f16 v54, 0xb482, v161, v54 op_sel:[0,0,1] op_sel_hi:[0,1,0] neg_lo:[0,1,0] neg_hi:[0,1,0]
	v_pk_fma_f16 v161, 0x3853, v174, v59 op_sel:[0,0,1] op_sel_hi:[0,1,0]
	v_pk_mul_f16 v60, 0xb93d, v60 op_sel_hi:[0,1]
	v_pack_b32_f16 v163, v167, v171
	v_pack_b32_f16 v164, v164, v169
	v_pk_add_f16 v157, v53, v157
	v_alignbit_b32 v167, s0, v53, 16
	v_pk_add_f16 v54, v53, v54 op_sel:[1,0] op_sel_hi:[0,1]
	v_alignbit_b32 v169, s0, v161, 16
	v_pk_fma_f16 v59, 0x3853, v174, v59 op_sel:[0,0,1] op_sel_hi:[0,1,0] neg_lo:[0,1,0] neg_hi:[0,1,0]
	v_pk_fma_f16 v171, 0xba0c, v180, v60 op_sel:[0,0,1] op_sel_hi:[0,1,0]
	v_pk_mul_f16 v55, 0x36a6, v55 op_sel_hi:[0,1]
	v_pk_add_f16 v167, v167, v177
	v_pk_add_f16 v157, v169, v157
	;; [unrolled: 1-line block ×3, first 2 shown]
	v_alignbit_b32 v59, s0, v171, 16
	v_pk_fma_f16 v60, 0xba0c, v180, v60 op_sel:[0,0,1] op_sel_hi:[0,1,0] neg_lo:[0,1,0] neg_hi:[0,1,0]
	v_pk_fma_f16 v169, 0x3b47, v186, v55 op_sel:[0,0,1] op_sel_hi:[0,1,0]
	v_bfi_b32 v159, 0xffff, v159, v162
	v_mul_f16_sdwa v158, v56, v158 dst_sel:DWORD dst_unused:UNUSED_PAD src0_sel:WORD_1 src1_sel:DWORD
	v_fma_f16 v175, v56, 0x36a6, -v183
	v_pk_add_f16 v161, v161, v167
	v_pk_add_f16 v59, v59, v157
	;; [unrolled: 1-line block ×3, first 2 shown]
	v_alignbit_b32 v60, s0, v169, 16
	v_pk_mul_f16 v56, 0xb08e, v56 op_sel_hi:[0,1]
	v_pk_add_f16 v53, v53, v159
	v_bfi_b32 v62, 0xffff, v62, v179
	v_fmac_f16_e32 v173, 0xba0c, v181
	v_pk_add_f16 v157, v171, v161
	v_pk_fma_f16 v55, 0x3b47, v186, v55 op_sel:[0,0,1] op_sel_hi:[0,1,0] neg_lo:[0,1,0] neg_hi:[0,1,0]
	v_pk_add_f16 v59, v60, v59
	v_pk_fma_f16 v60, 0xbbeb, v181, v56 op_sel:[0,0,1] op_sel_hi:[0,1,0]
	v_pk_add_f16 v53, v62, v53
	v_bfi_b32 v61, 0xffff, v61, v185
	v_add_f16_e32 v168, v173, v168
	v_fmamk_f16 v173, v181, 0xbb47, v158
	v_pk_add_f16 v54, v55, v54
	v_pk_fma_f16 v55, 0xbbeb, v181, v56 op_sel:[0,0,1] op_sel_hi:[0,1,0] neg_lo:[0,1,0] neg_hi:[0,1,0]
	v_pk_add_f16 v56, v169, v157
	v_alignbit_b32 v62, s0, v60, 16
	v_fmac_f16_e32 v158, 0x3b47, v181
	v_fmac_f16_e32 v190, 0x3853, v181
	v_pk_add_f16 v53, v61, v53
	v_bfi_b32 v58, 0xffff, v58, v182
	v_add_f16_e32 v173, v173, v178
	v_pk_add_f16 v54, v55, v54
	v_pk_add_f16 v55, v60, v56
	;; [unrolled: 1-line block ×3, first 2 shown]
	v_add_f16_e32 v170, v175, v170
	v_add_f16_e32 v158, v158, v176
	;; [unrolled: 1-line block ×3, first 2 shown]
	v_pk_add_f16 v53, v58, v53
	v_bfi_b32 v57, 0xffff, v57, v189
	v_pack_b32_f16 v59, v172, v173
	v_alignbit_b32 v55, v55, v54, 16
	v_pack_b32_f16 v54, v56, v54
	v_pack_b32_f16 v56, v165, v168
	;; [unrolled: 1-line block ×3, first 2 shown]
	v_pk_add_f16 v53, v57, v53
	v_pack_b32_f16 v57, v160, v166
	ds_write2_b32 v76, v164, v163 offset0:2 offset1:3
	ds_write_b32 v76, v59 offset:16
	ds_write2_b32 v76, v54, v55 offset0:5 offset1:6
	ds_write2_b32 v76, v58, v56 offset0:7 offset1:8
	;; [unrolled: 1-line block ×3, first 2 shown]
	s_and_saveexec_b32 s1, vcc_lo
	s_cbranch_execz .LBB0_17
; %bb.16:
	v_mul_f16_e32 v167, 0xb482, v144
	v_mul_f16_e32 v172, 0x3853, v145
	;; [unrolled: 1-line block ×4, first 2 shown]
	v_add_f16_e32 v52, v52, v51
	v_fmamk_f16 v171, v117, 0xbbad, v167
	v_fmamk_f16 v174, v118, 0x3abb, v172
	v_add_f16_e32 v112, v112, v109
	v_mul_f16_e32 v55, 0xb93d, v117
	v_add_f16_e32 v49, v49, v52
	v_add_f16_e32 v171, v51, v171
	v_mul_f16_e32 v56, 0xb93d, v150
	v_add_f16_e32 v52, v110, v112
	v_mul_f16_e32 v112, 0xbb47, v145
	v_add_f16_e32 v49, v50, v49
	v_add_f16_e32 v171, v174, v171
	v_fmamk_f16 v174, v121, 0xb93d, v175
	v_add_f16_e32 v50, v111, v52
	v_mul_f16_e32 v111, 0xbbeb, v148
	v_add_f16_e32 v47, v47, v49
	v_mul_f16_e32 v158, 0xbbad, v150
	v_add_f16_e32 v171, v174, v171
	v_fmamk_f16 v174, v123, 0x36a6, v177
	v_add_f16_e32 v49, v108, v50
	v_add_f16_e32 v47, v48, v47
	v_fmamk_f16 v108, v121, 0xb08e, v111
	v_mul_f16_e32 v59, 0xb08e, v118
	v_add_f16_e32 v171, v174, v171
	v_mul_f16_e32 v174, 0xbb47, v144
	v_mul_f16_e32 v144, 0xb853, v144
	v_add_f16_e32 v49, v83, v49
	v_add_f16_e32 v35, v35, v47
	v_mul_f16_e32 v60, 0xb08e, v152
	v_fmamk_f16 v163, v119, 0x3482, v158
	v_fmamk_f16 v110, v117, 0x3abb, v144
	v_add_f16_e32 v47, v85, v49
	v_mul_f16_e32 v85, 0xb482, v153
	v_add_f16_e32 v35, v36, v35
	v_mul_f16_e32 v164, 0x3abb, v152
	v_add_f16_e32 v52, v51, v110
	v_fmamk_f16 v110, v118, 0x36a6, v112
	v_add_f16_e32 v36, v82, v47
	v_add_f16_e32 v33, v33, v35
	v_sub_f16_e32 v55, v55, v133
	v_mul_f16_e32 v76, 0x3abb, v121
	v_add_f16_e32 v52, v110, v52
	v_mul_f16_e32 v110, 0xba0c, v151
	v_add_f16_e32 v35, v80, v36
	v_add_f16_e32 v33, v34, v33
	v_mul_f16_e32 v157, 0x3abb, v154
	v_add_f16_e32 v52, v108, v52
	v_fmamk_f16 v49, v123, 0xb93d, v110
	v_add_f16_e32 v35, v79, v35
	v_add_f16_e32 v163, v109, v163
	v_fmamk_f16 v168, v120, 0xb853, v164
	v_mul_f16_e32 v169, 0xb93d, v154
	v_add_f16_e32 v49, v49, v52
	v_fmamk_f16 v52, v129, 0xbbad, v85
	v_add_f16_sdwa v35, v48, v35 dst_sel:DWORD dst_unused:UNUSED_PAD src0_sel:WORD_1 src1_sel:DWORD
	v_add_f16_e32 v48, v137, v56
	v_add_f16_e32 v56, v139, v60
	;; [unrolled: 1-line block ×4, first 2 shown]
	v_fma_f16 v49, v117, 0xbbad, -v167
	v_fma_f16 v52, v118, 0x3abb, -v172
	v_add_f16_e32 v48, v109, v48
	v_sub_f16_e32 v59, v59, v136
	v_mul_f16_e32 v54, 0xb08e, v150
	v_add_f16_e32 v49, v51, v49
	v_mul_f16_e32 v161, 0xbbad, v123
	v_mul_f16_e32 v162, 0xbbad, v155
	v_add_f16_e32 v163, v168, v163
	v_fmamk_f16 v168, v122, 0x3a0c, v169
	v_add_f16_e32 v49, v52, v49
	v_fma_f16 v52, v121, 0xb93d, -v175
	v_mul_f16_e32 v173, 0x36a6, v155
	v_mul_f16_e32 v183, 0xbbeb, v153
	v_add_f16_e32 v48, v56, v48
	v_add_f16_e32 v56, v141, v157
	;; [unrolled: 1-line block ×3, first 2 shown]
	v_fma_f16 v52, v123, 0x36a6, -v177
	v_add_f16_e32 v55, v59, v55
	v_sub_f16_e32 v59, v76, v138
	v_mul_f16_e32 v53, 0xb08e, v117
	v_mul_f16_e32 v58, 0xbbad, v152
	v_add_f16_e32 v163, v168, v163
	v_fmamk_f16 v168, v124, 0xbb47, v173
	v_mul_f16_e32 v179, 0x36a6, v156
	v_add_f16_e32 v48, v56, v48
	v_add_f16_e32 v56, v147, v162
	;; [unrolled: 1-line block ×3, first 2 shown]
	v_fma_f16 v52, v129, 0xb08e, -v183
	v_add_f16_e32 v55, v59, v55
	v_sub_f16_e32 v59, v161, v143
	v_add_f16_e32 v54, v126, v54
	v_fmamk_f16 v184, v117, 0x36a6, v174
	v_mul_f16_e32 v185, 0xba0c, v145
	v_mul_f16_e32 v57, 0xbbad, v118
	;; [unrolled: 1-line block ×4, first 2 shown]
	v_add_f16_e32 v163, v168, v163
	v_mul_f16_e32 v168, 0x36a6, v150
	v_add_f16_e32 v48, v56, v48
	v_add_f16_e32 v56, v149, v179
	;; [unrolled: 1-line block ×3, first 2 shown]
	v_sub_f16_e32 v52, v53, v125
	v_add_f16_e32 v53, v59, v55
	v_add_f16_e32 v54, v109, v54
	;; [unrolled: 1-line block ×4, first 2 shown]
	v_fmamk_f16 v187, v118, 0xb93d, v185
	v_mul_f16_e32 v188, 0x3482, v148
	v_mul_f16_e32 v61, 0x36a6, v121
	;; [unrolled: 1-line block ×3, first 2 shown]
	v_fmamk_f16 v178, v131, 0x3beb, v176
	v_fmamk_f16 v180, v119, 0x3b47, v168
	v_mul_f16_e32 v181, 0xb93d, v152
	v_add_f16_e32 v48, v56, v48
	v_add_f16_e32 v52, v51, v52
	v_sub_f16_e32 v56, v57, v127
	v_fmac_f16_e32 v168, 0xbb47, v119
	v_add_f16_e32 v54, v55, v54
	v_add_f16_e32 v55, v132, v62
	;; [unrolled: 1-line block ×3, first 2 shown]
	v_fmamk_f16 v187, v121, 0xbbad, v188
	v_mul_f16_e32 v190, 0x3beb, v151
	v_mul_f16_e32 v150, 0x3abb, v150
	v_mul_f16_e32 v159, 0x3abb, v123
	v_mul_f16_e32 v166, 0xb93d, v156
	v_add_f16_e32 v163, v178, v163
	v_add_f16_e32 v178, v109, v180
	v_fmamk_f16 v180, v120, 0x3a0c, v181
	v_mul_f16_e32 v182, 0xbbad, v154
	v_add_f16_e32 v52, v56, v52
	v_sub_f16_e32 v56, v61, v130
	v_add_f16_e32 v58, v109, v168
	v_fmac_f16_e32 v181, 0xba0c, v120
	v_add_f16_e32 v54, v55, v54
	v_add_f16_e32 v55, v135, v160
	v_mul_f16_e32 v170, 0x36a6, v129
	v_add_f16_e32 v184, v187, v184
	v_fmamk_f16 v187, v123, 0xb08e, v190
	v_mul_f16_e32 v191, 0x3853, v153
	v_fmamk_f16 v192, v119, 0x3853, v150
	v_mul_f16_e32 v152, 0x36a6, v152
	v_mul_f16_e32 v165, 0xb93d, v129
	v_add_f16_e32 v178, v180, v178
	v_fmamk_f16 v180, v122, 0xb482, v182
	v_mul_f16_e32 v186, 0xb08e, v155
	v_add_f16_e32 v52, v56, v52
	v_sub_f16_e32 v56, v159, v134
	v_add_f16_e32 v58, v181, v58
	v_fmac_f16_e32 v182, 0x3482, v122
	v_add_f16_e32 v54, v55, v54
	v_add_f16_e32 v55, v142, v166
	v_sub_f16_e32 v57, v170, v146
	v_fmamk_f16 v189, v129, 0xb08e, v183
	v_add_f16_e32 v184, v187, v184
	v_fmamk_f16 v187, v129, 0x3abb, v191
	v_add_f16_e32 v192, v109, v192
	v_fmamk_f16 v194, v120, 0x3b47, v152
	v_mul_f16_e32 v154, 0xb08e, v154
	v_fmac_f16_e32 v158, 0xb482, v119
	v_add_f16_e32 v178, v180, v178
	v_fmamk_f16 v180, v124, 0xbbeb, v186
	v_add_f16_e32 v52, v56, v52
	v_sub_f16_e32 v56, v165, v140
	v_add_f16_e32 v58, v182, v58
	v_fmac_f16_e32 v186, 0x3beb, v124
	v_add_f16_e32 v54, v55, v54
	v_fma_f16 v55, v117, 0x36a6, -v174
	v_add_f16_e32 v53, v57, v53
	v_fmac_f16_e32 v150, 0xb853, v119
	v_fma_f16 v57, v117, 0x3abb, -v144
	v_add_f16_e32 v171, v189, v171
	v_add_f16_e32 v184, v187, v184
	;; [unrolled: 1-line block ×3, first 2 shown]
	v_fmamk_f16 v189, v122, 0x3beb, v154
	v_mul_f16_e32 v155, 0xb93d, v155
	v_add_f16_e32 v47, v109, v158
	v_fmac_f16_e32 v164, 0x3853, v120
	v_add_f16_e32 v52, v56, v52
	v_add_f16_e32 v56, v186, v58
	;; [unrolled: 1-line block ×3, first 2 shown]
	v_fma_f16 v58, v118, 0xb93d, -v185
	v_add_f16_e32 v59, v109, v150
	v_fmac_f16_e32 v152, 0xbb47, v120
	v_add_f16_e32 v51, v51, v57
	v_fma_f16 v57, v118, 0x36a6, -v112
	v_add_f16_e32 v187, v189, v187
	v_fmamk_f16 v189, v124, 0x3a0c, v155
	v_mul_f16_e32 v50, 0xbbad, v156
	v_add_f16_e32 v36, v164, v47
	v_fmac_f16_e32 v169, 0xba0c, v122
	v_add_f16_e32 v55, v58, v55
	v_fma_f16 v58, v121, 0xbbad, -v188
	v_add_f16_e32 v59, v152, v59
	v_fmac_f16_e32 v154, 0xbbeb, v122
	v_add_f16_e32 v51, v57, v51
	v_fma_f16 v57, v121, 0xb08e, -v111
	v_add_f16_e32 v178, v180, v178
	v_mul_f16_e32 v180, 0x3abb, v156
	v_add_f16_e32 v145, v189, v187
	v_fmamk_f16 v83, v131, 0x3482, v50
	v_add_f16_e32 v36, v169, v36
	v_fmac_f16_e32 v173, 0x3b47, v124
	v_add_f16_e32 v55, v58, v55
	v_fma_f16 v58, v123, 0xb08e, -v190
	v_add_f16_e32 v59, v154, v59
	v_fmac_f16_e32 v155, 0xba0c, v124
	v_add_f16_e32 v51, v57, v51
	v_fma_f16 v57, v123, 0xb93d, -v110
	v_fmamk_f16 v193, v131, 0xb853, v180
	v_add_f16_e32 v47, v83, v145
	v_add_f16_e32 v33, v78, v33
	;; [unrolled: 1-line block ×3, first 2 shown]
	v_fmac_f16_e32 v176, 0xbbeb, v131
	v_fmac_f16_e32 v180, 0x3853, v131
	v_add_f16_e32 v55, v58, v55
	v_fma_f16 v58, v129, 0x3abb, -v191
	v_add_f16_e32 v59, v155, v59
	v_fmac_f16_e32 v50, 0xb482, v131
	v_add_f16_e32 v51, v57, v51
	v_fma_f16 v57, v129, 0xbbad, -v85
	v_add_f16_e32 v178, v193, v178
	v_lshlrev_b32_e32 v60, 2, v77
	v_pack_b32_f16 v34, v34, v47
	v_pack_b32_f16 v33, v33, v35
	v_add_f16_e32 v36, v176, v36
	v_add_f16_e32 v35, v180, v56
	;; [unrolled: 1-line block ×5, first 2 shown]
	ds_write2_b32 v60, v33, v34 offset1:1
	v_pack_b32_f16 v33, v184, v178
	v_perm_b32 v34, v114, v113, 0x5040100
	v_pack_b32_f16 v55, v171, v163
	v_perm_b32 v56, v116, v115, 0x5040100
	v_pack_b32_f16 v48, v53, v48
	v_pack_b32_f16 v36, v49, v36
	;; [unrolled: 1-line block ×5, first 2 shown]
	ds_write2_b32 v60, v33, v34 offset0:2 offset1:3
	ds_write2_b32 v60, v56, v55 offset0:4 offset1:5
	;; [unrolled: 1-line block ×4, first 2 shown]
	ds_write_b32 v60, v47 offset:40
.LBB0_17:
	s_or_b32 exec_lo, exec_lo, s1
	v_add_nc_u32_e32 v35, 0xe00, v63
	v_add_nc_u32_e32 v33, 0xa00, v63
	;; [unrolled: 1-line block ×6, first 2 shown]
	s_waitcnt lgkmcnt(0)
	s_barrier
	buffer_gl0_inv
	ds_read2_b32 v[47:48], v63 offset1:110
	ds_read2_b32 v[33:34], v33 offset0:20 offset1:185
	ds_read2_b32 v[55:56], v35 offset0:39 offset1:149
	;; [unrolled: 1-line block ×6, first 2 shown]
	s_and_saveexec_b32 s1, s0
	s_cbranch_execz .LBB0_19
; %bb.18:
	ds_read_b32 v113, v63 offset:3080
	ds_read_b32 v115, v63 offset:6380
	s_waitcnt lgkmcnt(1)
	v_lshrrev_b32_e32 v114, 16, v113
	s_waitcnt lgkmcnt(0)
	v_lshrrev_b32_e32 v116, 16, v115
.LBB0_19:
	s_or_b32 exec_lo, exec_lo, s1
	s_waitcnt lgkmcnt(5)
	v_lshrrev_b32_e32 v58, 16, v34
	s_waitcnt lgkmcnt(4)
	v_lshrrev_b32_e32 v60, 16, v55
	;; [unrolled: 2-line block ×3, first 2 shown]
	v_mul_f16_sdwa v85, v97, v34 dst_sel:DWORD dst_unused:UNUSED_PAD src0_sel:WORD_1 src1_sel:DWORD
	v_lshrrev_b32_e32 v62, 16, v56
	v_mul_f16_sdwa v83, v97, v58 dst_sel:DWORD dst_unused:UNUSED_PAD src0_sel:WORD_1 src1_sel:DWORD
	v_mul_f16_sdwa v109, v91, v60 dst_sel:DWORD dst_unused:UNUSED_PAD src0_sel:WORD_1 src1_sel:DWORD
	v_lshrrev_b32_e32 v79, 16, v54
	s_waitcnt lgkmcnt(0)
	v_lshrrev_b32_e32 v110, 16, v52
	v_lshrrev_b32_e32 v82, 16, v51
	v_fmac_f16_e32 v83, v97, v34
	v_fma_f16 v34, v97, v58, -v85
	v_mul_f16_sdwa v58, v91, v55 dst_sel:DWORD dst_unused:UNUSED_PAD src0_sel:WORD_1 src1_sel:DWORD
	v_mul_f16_sdwa v97, v89, v77 dst_sel:DWORD dst_unused:UNUSED_PAD src0_sel:WORD_1 src1_sel:DWORD
	v_fmac_f16_e32 v109, v91, v55
	v_mul_f16_sdwa v55, v90, v62 dst_sel:DWORD dst_unused:UNUSED_PAD src0_sel:WORD_1 src1_sel:DWORD
	v_mul_f16_sdwa v85, v90, v56 dst_sel:DWORD dst_unused:UNUSED_PAD src0_sel:WORD_1 src1_sel:DWORD
	v_fma_f16 v58, v91, v60, -v58
	v_mul_f16_sdwa v60, v89, v53 dst_sel:DWORD dst_unused:UNUSED_PAD src0_sel:WORD_1 src1_sel:DWORD
	v_fmac_f16_e32 v97, v89, v53
	v_mul_f16_sdwa v53, v87, v79 dst_sel:DWORD dst_unused:UNUSED_PAD src0_sel:WORD_1 src1_sel:DWORD
	v_fmac_f16_e32 v55, v90, v56
	v_fma_f16 v56, v90, v62, -v85
	v_mul_f16_sdwa v62, v87, v54 dst_sel:DWORD dst_unused:UNUSED_PAD src0_sel:WORD_1 src1_sel:DWORD
	v_lshrrev_b32_e32 v57, 16, v47
	v_fmac_f16_e32 v53, v87, v54
	v_mul_f16_sdwa v54, v84, v110 dst_sel:DWORD dst_unused:UNUSED_PAD src0_sel:WORD_1 src1_sel:DWORD
	v_lshrrev_b32_e32 v59, 16, v48
	v_fma_f16 v60, v89, v77, -v60
	v_mul_f16_sdwa v77, v88, v82 dst_sel:DWORD dst_unused:UNUSED_PAD src0_sel:WORD_1 src1_sel:DWORD
	v_mul_f16_sdwa v85, v88, v51 dst_sel:DWORD dst_unused:UNUSED_PAD src0_sel:WORD_1 src1_sel:DWORD
	v_fma_f16 v62, v87, v79, -v62
	v_mul_f16_sdwa v79, v84, v52 dst_sel:DWORD dst_unused:UNUSED_PAD src0_sel:WORD_1 src1_sel:DWORD
	v_lshrrev_b32_e32 v61, 16, v49
	v_fmac_f16_e32 v54, v84, v52
	v_sub_f16_e32 v52, v47, v83
	v_sub_f16_e32 v34, v57, v34
	v_lshrrev_b32_e32 v76, 16, v50
	v_fmac_f16_e32 v77, v88, v51
	v_fma_f16 v51, v88, v82, -v85
	v_sub_f16_e32 v82, v48, v109
	v_sub_f16_e32 v58, v59, v58
	v_lshrrev_b32_e32 v78, 16, v35
	v_lshrrev_b32_e32 v80, 16, v36
	;; [unrolled: 1-line block ×3, first 2 shown]
	v_fma_f16 v79, v84, v110, -v79
	v_fma_f16 v47, v47, 2.0, -v52
	v_fma_f16 v57, v57, 2.0, -v34
	v_sub_f16_e32 v55, v49, v55
	v_sub_f16_e32 v56, v61, v56
	v_fma_f16 v48, v48, 2.0, -v82
	v_fma_f16 v59, v59, 2.0, -v58
	v_sub_f16_e32 v83, v50, v97
	v_sub_f16_e32 v60, v76, v60
	;; [unrolled: 1-line block ×8, first 2 shown]
	v_fma_f16 v49, v49, 2.0, -v55
	v_fma_f16 v61, v61, 2.0, -v56
	v_pack_b32_f16 v47, v47, v57
	v_pack_b32_f16 v34, v52, v34
	v_fma_f16 v50, v50, 2.0, -v83
	v_fma_f16 v76, v76, 2.0, -v60
	v_pack_b32_f16 v48, v48, v59
	v_pack_b32_f16 v52, v82, v58
	v_fma_f16 v35, v35, 2.0, -v53
	v_fma_f16 v78, v78, 2.0, -v62
	;; [unrolled: 1-line block ×6, first 2 shown]
	s_barrier
	buffer_gl0_inv
	ds_write2_b32 v98, v47, v34 offset1:11
	ds_write2_b32 v99, v48, v52 offset1:11
	v_pack_b32_f16 v34, v49, v61
	v_pack_b32_f16 v47, v55, v56
	;; [unrolled: 1-line block ×10, first 2 shown]
	ds_write2_b32 v92, v34, v47 offset1:11
	ds_write2_b32 v93, v48, v49 offset1:11
	;; [unrolled: 1-line block ×5, first 2 shown]
	s_and_saveexec_b32 s1, s0
	s_cbranch_execz .LBB0_21
; %bb.20:
	v_mul_f16_sdwa v33, v81, v116 dst_sel:DWORD dst_unused:UNUSED_PAD src0_sel:WORD_1 src1_sel:DWORD
	v_mul_f16_sdwa v34, v81, v115 dst_sel:DWORD dst_unused:UNUSED_PAD src0_sel:WORD_1 src1_sel:DWORD
	v_mov_b32_e32 v35, 2
	v_fmac_f16_e32 v33, v81, v115
	v_fma_f16 v34, v81, v116, -v34
	v_lshlrev_b32_sdwa v35, v35, v86 dst_sel:DWORD dst_unused:UNUSED_PAD src0_sel:DWORD src1_sel:WORD_0
	v_sub_f16_e32 v33, v113, v33
	v_sub_f16_e32 v34, v114, v34
	v_fma_f16 v36, v113, 2.0, -v33
	v_fma_f16 v47, v114, 2.0, -v34
	v_pack_b32_f16 v33, v33, v34
	v_pack_b32_f16 v36, v36, v47
	ds_write2_b32 v35, v36, v33 offset1:11
.LBB0_21:
	s_or_b32 exec_lo, exec_lo, s1
	v_add_nc_u32_e32 v35, 0x600, v63
	v_add_nc_u32_e32 v36, 0x1000, v63
	s_waitcnt lgkmcnt(0)
	s_barrier
	buffer_gl0_inv
	ds_read2_b32 v[51:52], v35 offset0:56 offset1:166
	v_add_nc_u32_e32 v34, 0xa00, v63
	ds_read2_b32 v[49:50], v63 offset1:110
	ds_read_b32 v76, v63 offset:6160
	ds_read2_b32 v[53:54], v36 offset0:76 offset1:186
	v_add_nc_u32_e32 v47, 0x200, v63
	v_add_nc_u32_e32 v33, 0x1400, v63
	ds_read2_b32 v[55:56], v34 offset0:20 offset1:130
	v_add_nc_u32_e32 v48, 0xc00, v63
	ds_read2_b32 v[57:58], v47 offset0:92 offset1:202
	ds_read2_b32 v[59:60], v33 offset0:40 offset1:150
	;; [unrolled: 1-line block ×3, first 2 shown]
	s_waitcnt lgkmcnt(0)
	s_barrier
	buffer_gl0_inv
	s_mov_b32 s4, 0x3dc013dc
	s_mov_b32 s5, 0x3f43dc01
	v_lshrrev_b32_e32 v80, 16, v52
	v_mul_f16_sdwa v92, v45, v52 dst_sel:DWORD dst_unused:UNUSED_PAD src0_sel:WORD_1 src1_sel:DWORD
	v_lshrrev_b32_e32 v79, 16, v76
	v_lshrrev_b32_e32 v81, 16, v53
	;; [unrolled: 1-line block ×3, first 2 shown]
	v_mul_f16_sdwa v90, v45, v80 dst_sel:DWORD dst_unused:UNUSED_PAD src0_sel:WORD_1 src1_sel:DWORD
	v_lshrrev_b32_e32 v82, 16, v55
	v_lshrrev_b32_e32 v85, 16, v56
	v_mul_f16_sdwa v94, v46, v81 dst_sel:DWORD dst_unused:UNUSED_PAD src0_sel:WORD_1 src1_sel:DWORD
	v_lshrrev_b32_e32 v86, 16, v59
	v_fmac_f16_e32 v90, v45, v52
	v_mul_f16_sdwa v52, v46, v53 dst_sel:DWORD dst_unused:UNUSED_PAD src0_sel:WORD_1 src1_sel:DWORD
	v_fma_f16 v45, v45, v80, -v92
	v_mul_f16_sdwa v80, v43, v82 dst_sel:DWORD dst_unused:UNUSED_PAD src0_sel:WORD_1 src1_sel:DWORD
	v_fmac_f16_e32 v94, v46, v53
	v_mul_f16_sdwa v53, v43, v55 dst_sel:DWORD dst_unused:UNUSED_PAD src0_sel:WORD_1 src1_sel:DWORD
	v_fma_f16 v46, v46, v81, -v52
	v_mul_f16_sdwa v52, v44, v83 dst_sel:DWORD dst_unused:UNUSED_PAD src0_sel:WORD_1 src1_sel:DWORD
	;; [unrolled: 4-line block ×3, first 2 shown]
	v_lshrrev_b32_e32 v88, 16, v61
	v_fmac_f16_e32 v52, v44, v54
	v_mul_f16_sdwa v54, v41, v56 dst_sel:DWORD dst_unused:UNUSED_PAD src0_sel:WORD_1 src1_sel:DWORD
	v_fma_f16 v44, v44, v83, -v55
	v_mul_f16_sdwa v55, v42, v86 dst_sel:DWORD dst_unused:UNUSED_PAD src0_sel:WORD_1 src1_sel:DWORD
	v_lshrrev_b32_e32 v89, 16, v60
	v_fmac_f16_e32 v53, v41, v56
	v_mul_f16_sdwa v56, v42, v59 dst_sel:DWORD dst_unused:UNUSED_PAD src0_sel:WORD_1 src1_sel:DWORD
	v_lshrrev_b32_e32 v93, 16, v62
	v_fma_f16 v41, v41, v85, -v54
	v_mul_f16_sdwa v54, v39, v88 dst_sel:DWORD dst_unused:UNUSED_PAD src0_sel:WORD_1 src1_sel:DWORD
	v_fmac_f16_e32 v55, v42, v59
	v_mul_f16_sdwa v59, v39, v61 dst_sel:DWORD dst_unused:UNUSED_PAD src0_sel:WORD_1 src1_sel:DWORD
	v_fma_f16 v42, v42, v86, -v56
	v_mul_f16_sdwa v56, v40, v89 dst_sel:DWORD dst_unused:UNUSED_PAD src0_sel:WORD_1 src1_sel:DWORD
	v_fmac_f16_e32 v54, v39, v61
	v_mul_f16_sdwa v61, v40, v60 dst_sel:DWORD dst_unused:UNUSED_PAD src0_sel:WORD_1 src1_sel:DWORD
	;; [unrolled: 4-line block ×4, first 2 shown]
	v_lshrrev_b32_e32 v77, 16, v49
	v_fma_f16 v37, v37, v93, -v60
	v_add_f16_e32 v60, v90, v94
	v_fmac_f16_e32 v61, v38, v76
	v_fma_f16 v38, v38, v79, -v62
	v_add_f16_e32 v62, v45, v46
	v_add_f16_e32 v76, v49, v90
	v_fma_f16 v49, -0.5, v60, v49
	v_sub_f16_e32 v60, v45, v46
	v_add_f16_e32 v45, v77, v45
	v_fmac_f16_e32 v77, -0.5, v62
	v_sub_f16_e32 v62, v90, v94
	v_lshrrev_b32_e32 v78, 16, v50
	v_fmamk_f16 v79, v60, 0xbaee, v49
	v_add_f16_e32 v45, v45, v46
	v_add_f16_e32 v46, v80, v52
	v_fmac_f16_e32 v49, 0x3aee, v60
	v_fmamk_f16 v60, v62, 0x3aee, v77
	v_add_f16_e32 v81, v50, v80
	v_fmac_f16_e32 v77, 0xbaee, v62
	v_add_f16_e32 v62, v43, v44
	v_fmac_f16_e32 v50, -0.5, v46
	v_sub_f16_e32 v46, v43, v44
	v_add_f16_e32 v43, v78, v43
	v_add_f16_e32 v81, v81, v52
	v_fmac_f16_e32 v78, -0.5, v62
	v_sub_f16_e32 v52, v80, v52
	v_lshrrev_b32_e32 v84, 16, v57
	v_add_f16_e32 v43, v43, v44
	v_add_f16_e32 v44, v53, v55
	v_fmamk_f16 v62, v46, 0xbaee, v50
	v_fmac_f16_e32 v50, 0x3aee, v46
	v_fmamk_f16 v46, v52, 0x3aee, v78
	v_fmac_f16_e32 v78, 0xbaee, v52
	v_add_f16_e32 v52, v41, v42
	v_add_f16_e32 v80, v57, v53
	v_fma_f16 v44, -0.5, v44, v57
	v_sub_f16_e32 v57, v41, v42
	v_add_f16_e32 v41, v84, v41
	v_fmac_f16_e32 v84, -0.5, v52
	v_sub_f16_e32 v52, v53, v55
	v_lshrrev_b32_e32 v87, 16, v58
	v_add_f16_e32 v80, v80, v55
	v_add_f16_e32 v41, v41, v42
	;; [unrolled: 1-line block ×3, first 2 shown]
	v_fmamk_f16 v55, v52, 0x3aee, v84
	v_fmac_f16_e32 v84, 0xbaee, v52
	v_add_f16_e32 v52, v39, v40
	v_fmamk_f16 v53, v57, 0xbaee, v44
	v_fmac_f16_e32 v44, 0x3aee, v57
	v_add_f16_e32 v57, v58, v54
	v_fmac_f16_e32 v58, -0.5, v42
	v_sub_f16_e32 v42, v39, v40
	v_add_f16_e32 v39, v87, v39
	v_fmac_f16_e32 v87, -0.5, v52
	v_sub_f16_e32 v52, v54, v56
	v_lshrrev_b32_e32 v91, 16, v51
	v_fmamk_f16 v54, v42, 0xbaee, v58
	v_add_f16_e32 v39, v39, v40
	v_add_f16_e32 v40, v59, v61
	v_fmac_f16_e32 v58, 0x3aee, v42
	v_fmamk_f16 v42, v52, 0x3aee, v87
	v_fmac_f16_e32 v87, 0xbaee, v52
	v_add_f16_e32 v52, v37, v38
	v_add_f16_e32 v76, v76, v94
	;; [unrolled: 1-line block ×4, first 2 shown]
	v_fmac_f16_e32 v51, -0.5, v40
	v_sub_f16_e32 v40, v37, v38
	v_add_f16_e32 v37, v91, v37
	v_fmac_f16_e32 v91, -0.5, v52
	v_sub_f16_e32 v52, v59, v61
	v_pack_b32_f16 v49, v49, v77
	v_fmamk_f16 v59, v40, 0xbaee, v51
	v_fmac_f16_e32 v51, 0x3aee, v40
	v_pack_b32_f16 v40, v76, v45
	v_pack_b32_f16 v45, v79, v60
	;; [unrolled: 1-line block ×4, first 2 shown]
	v_add_f16_e32 v56, v56, v61
	v_add_f16_e32 v37, v37, v38
	v_fmamk_f16 v38, v52, 0x3aee, v91
	v_pack_b32_f16 v50, v50, v78
	v_fmac_f16_e32 v91, 0xbaee, v52
	v_pack_b32_f16 v41, v80, v41
	v_pack_b32_f16 v52, v53, v55
	ds_write2_b32 v107, v40, v45 offset1:22
	ds_write_b32 v107, v49 offset:176
	ds_write2_b32 v106, v43, v46 offset1:22
	ds_write_b32 v106, v50 offset:176
	ds_write2_b32 v102, v41, v52 offset1:22
	v_pack_b32_f16 v40, v44, v84
	v_pack_b32_f16 v39, v57, v39
	v_pack_b32_f16 v41, v54, v42
	v_pack_b32_f16 v42, v58, v87
	v_pack_b32_f16 v37, v56, v37
	v_pack_b32_f16 v38, v59, v38
	v_pack_b32_f16 v43, v51, v91
	ds_write_b32 v102, v40 offset:176
	ds_write2_b32 v101, v39, v41 offset1:22
	ds_write_b32 v101, v42 offset:176
	ds_write2_b32 v100, v37, v38 offset1:22
	ds_write_b32 v100, v43 offset:176
	s_waitcnt lgkmcnt(0)
	s_barrier
	buffer_gl0_inv
	ds_read2_b32 v[37:38], v63 offset1:110
	ds_read2_b32 v[39:40], v47 offset0:92 offset1:202
	ds_read2_b32 v[41:42], v34 offset0:20 offset1:130
	;; [unrolled: 1-line block ×6, first 2 shown]
	ds_read_b32 v53, v63 offset:6160
	s_waitcnt lgkmcnt(0)
	s_barrier
	buffer_gl0_inv
	v_lshrrev_b32_e32 v54, 16, v37
	v_lshrrev_b32_e32 v55, 16, v40
	;; [unrolled: 1-line block ×6, first 2 shown]
	v_mul_f16_sdwa v82, v8, v55 dst_sel:DWORD dst_unused:UNUSED_PAD src0_sel:WORD_1 src1_sel:DWORD
	v_lshrrev_b32_e32 v61, 16, v42
	v_mul_f16_sdwa v83, v8, v40 dst_sel:DWORD dst_unused:UNUSED_PAD src0_sel:WORD_1 src1_sel:DWORD
	v_mul_f16_sdwa v84, v9, v56 dst_sel:DWORD dst_unused:UNUSED_PAD src0_sel:WORD_1 src1_sel:DWORD
	;; [unrolled: 1-line block ×4, first 2 shown]
	v_fmac_f16_e32 v82, v8, v40
	v_mul_f16_sdwa v40, v10, v44 dst_sel:DWORD dst_unused:UNUSED_PAD src0_sel:WORD_1 src1_sel:DWORD
	v_lshrrev_b32_e32 v62, 16, v51
	v_lshrrev_b32_e32 v76, 16, v46
	v_fma_f16 v8, v8, v55, -v83
	v_fmac_f16_e32 v84, v9, v41
	v_fma_f16 v9, v9, v56, -v85
	v_fmac_f16_e32 v86, v10, v44
	v_mul_f16_sdwa v41, v11, v58 dst_sel:DWORD dst_unused:UNUSED_PAD src0_sel:WORD_1 src1_sel:DWORD
	v_mul_f16_sdwa v44, v11, v45 dst_sel:DWORD dst_unused:UNUSED_PAD src0_sel:WORD_1 src1_sel:DWORD
	;; [unrolled: 1-line block ×4, first 2 shown]
	v_fma_f16 v10, v10, v57, -v40
	v_mul_f16_sdwa v40, v5, v61 dst_sel:DWORD dst_unused:UNUSED_PAD src0_sel:WORD_1 src1_sel:DWORD
	v_lshrrev_b32_e32 v78, 16, v50
	v_lshrrev_b32_e32 v79, 16, v43
	v_fmac_f16_e32 v41, v11, v45
	v_fma_f16 v11, v11, v58, -v44
	v_fmac_f16_e32 v55, v4, v49
	v_fma_f16 v4, v4, v60, -v56
	v_mul_f16_sdwa v44, v5, v42 dst_sel:DWORD dst_unused:UNUSED_PAD src0_sel:WORD_1 src1_sel:DWORD
	v_mul_f16_sdwa v45, v6, v62 dst_sel:DWORD dst_unused:UNUSED_PAD src0_sel:WORD_1 src1_sel:DWORD
	;; [unrolled: 1-line block ×4, first 2 shown]
	v_fmac_f16_e32 v40, v5, v42
	v_mul_f16_sdwa v42, v7, v46 dst_sel:DWORD dst_unused:UNUSED_PAD src0_sel:WORD_1 src1_sel:DWORD
	v_lshrrev_b32_e32 v80, 16, v52
	v_fma_f16 v5, v5, v61, -v44
	v_fmac_f16_e32 v45, v6, v51
	v_fma_f16 v6, v6, v62, -v49
	v_fmac_f16_e32 v56, v7, v46
	v_mul_f16_sdwa v44, v0, v78 dst_sel:DWORD dst_unused:UNUSED_PAD src0_sel:WORD_1 src1_sel:DWORD
	v_mul_f16_sdwa v46, v0, v50 dst_sel:DWORD dst_unused:UNUSED_PAD src0_sel:WORD_1 src1_sel:DWORD
	;; [unrolled: 1-line block ×4, first 2 shown]
	v_fma_f16 v7, v7, v76, -v42
	v_add_f16_e32 v42, v84, v86
	v_lshrrev_b32_e32 v81, 16, v53
	v_fmac_f16_e32 v44, v0, v50
	v_fma_f16 v0, v0, v78, -v46
	v_fmac_f16_e32 v49, v1, v43
	v_fma_f16 v1, v1, v79, -v51
	v_mul_f16_sdwa v43, v2, v80 dst_sel:DWORD dst_unused:UNUSED_PAD src0_sel:WORD_1 src1_sel:DWORD
	v_mul_f16_sdwa v46, v2, v52 dst_sel:DWORD dst_unused:UNUSED_PAD src0_sel:WORD_1 src1_sel:DWORD
	v_add_f16_e32 v51, v37, v82
	v_fma_f16 v42, -0.5, v42, v37
	v_sub_f16_e32 v57, v8, v11
	v_mul_f16_sdwa v50, v3, v81 dst_sel:DWORD dst_unused:UNUSED_PAD src0_sel:WORD_1 src1_sel:DWORD
	v_fmac_f16_e32 v43, v2, v52
	v_fma_f16 v2, v2, v80, -v46
	v_add_f16_e32 v46, v51, v84
	v_fmamk_f16 v51, v57, 0xbb9c, v42
	v_sub_f16_e32 v52, v9, v10
	v_sub_f16_e32 v58, v82, v84
	;; [unrolled: 1-line block ×3, first 2 shown]
	v_add_f16_e32 v61, v82, v41
	v_fmac_f16_e32 v42, 0x3b9c, v57
	v_fmac_f16_e32 v50, v3, v53
	v_mul_f16_sdwa v53, v3, v53 dst_sel:DWORD dst_unused:UNUSED_PAD src0_sel:WORD_1 src1_sel:DWORD
	v_add_f16_e32 v46, v46, v86
	v_fmac_f16_e32 v51, 0xb8b4, v52
	v_add_f16_e32 v58, v58, v60
	v_fma_f16 v37, -0.5, v61, v37
	v_sub_f16_e32 v60, v84, v82
	v_sub_f16_e32 v61, v86, v41
	v_fmac_f16_e32 v42, 0x38b4, v52
	v_add_f16_e32 v62, v54, v8
	v_add_f16_e32 v76, v9, v10
	v_fma_f16 v3, v3, v81, -v53
	v_add_f16_e32 v46, v46, v41
	v_fmac_f16_e32 v51, 0x34f2, v58
	v_fmamk_f16 v53, v52, 0x3b9c, v37
	v_add_f16_e32 v60, v60, v61
	v_fmac_f16_e32 v37, 0xbb9c, v52
	v_add_f16_e32 v52, v62, v9
	v_fma_f16 v61, -0.5, v76, v54
	v_sub_f16_e32 v41, v82, v41
	v_fmac_f16_e32 v42, 0x34f2, v58
	v_add_f16_e32 v58, v8, v11
	v_sub_f16_e32 v76, v8, v9
	v_sub_f16_e32 v8, v9, v8
	;; [unrolled: 1-line block ×3, first 2 shown]
	v_fmac_f16_e32 v53, 0xb8b4, v57
	v_fmac_f16_e32 v37, 0x38b4, v57
	v_add_f16_e32 v52, v52, v10
	v_fmamk_f16 v57, v41, 0x3b9c, v61
	v_sub_f16_e32 v62, v84, v86
	v_sub_f16_e32 v78, v11, v10
	v_fmac_f16_e32 v54, -0.5, v58
	v_fmac_f16_e32 v61, 0xbb9c, v41
	v_add_f16_e32 v10, v40, v45
	v_add_f16_e32 v8, v8, v9
	;; [unrolled: 1-line block ×3, first 2 shown]
	v_lshrrev_b32_e32 v59, 16, v38
	v_fmac_f16_e32 v53, 0x34f2, v60
	v_fmac_f16_e32 v37, 0x34f2, v60
	v_add_f16_e32 v52, v52, v11
	v_fmac_f16_e32 v57, 0x38b4, v62
	v_add_f16_e32 v58, v76, v78
	v_fmamk_f16 v60, v62, 0xbb9c, v54
	v_fmac_f16_e32 v61, 0xb8b4, v62
	v_fma_f16 v10, -0.5, v10, v38
	v_sub_f16_e32 v11, v4, v7
	v_fmac_f16_e32 v54, 0x3b9c, v62
	v_add_f16_e32 v9, v9, v40
	v_sub_f16_e32 v76, v55, v40
	v_sub_f16_e32 v78, v56, v45
	v_add_f16_e32 v79, v55, v56
	v_fmac_f16_e32 v57, 0x34f2, v58
	v_fmac_f16_e32 v60, 0x38b4, v41
	;; [unrolled: 1-line block ×3, first 2 shown]
	v_fmamk_f16 v58, v11, 0xbb9c, v10
	v_sub_f16_e32 v62, v5, v6
	v_fmac_f16_e32 v54, 0xb8b4, v41
	v_add_f16_e32 v9, v9, v45
	v_add_f16_e32 v41, v76, v78
	v_fmac_f16_e32 v38, -0.5, v79
	v_fmac_f16_e32 v10, 0x3b9c, v11
	v_sub_f16_e32 v76, v40, v55
	v_sub_f16_e32 v78, v45, v56
	v_add_f16_e32 v79, v59, v4
	v_add_f16_e32 v80, v5, v6
	v_fmac_f16_e32 v60, 0x34f2, v8
	v_fmac_f16_e32 v58, 0xb8b4, v62
	;; [unrolled: 1-line block ×3, first 2 shown]
	v_add_f16_e32 v8, v9, v56
	v_fmamk_f16 v9, v62, 0x3b9c, v38
	v_fmac_f16_e32 v10, 0x38b4, v62
	v_add_f16_e32 v76, v76, v78
	v_fmac_f16_e32 v38, 0xbb9c, v62
	v_add_f16_e32 v62, v79, v5
	v_fma_f16 v78, -0.5, v80, v59
	v_sub_f16_e32 v55, v55, v56
	v_add_f16_e32 v56, v4, v7
	v_fmac_f16_e32 v58, 0x34f2, v41
	v_fmac_f16_e32 v9, 0xb8b4, v11
	;; [unrolled: 1-line block ×4, first 2 shown]
	v_add_f16_e32 v11, v62, v6
	v_fmamk_f16 v41, v55, 0x3b9c, v78
	v_sub_f16_e32 v40, v40, v45
	v_sub_f16_e32 v45, v4, v5
	v_sub_f16_e32 v62, v7, v6
	v_fmac_f16_e32 v59, -0.5, v56
	v_fmac_f16_e32 v78, 0xbb9c, v55
	v_sub_f16_e32 v4, v5, v4
	v_sub_f16_e32 v5, v6, v7
	v_add_f16_e32 v6, v49, v43
	v_add_f16_e32 v11, v11, v7
	v_fmac_f16_e32 v41, 0x38b4, v40
	v_add_f16_e32 v45, v45, v62
	v_fmamk_f16 v56, v40, 0xbb9c, v59
	v_fmac_f16_e32 v78, 0xb8b4, v40
	v_add_f16_e32 v4, v4, v5
	v_fmac_f16_e32 v59, 0x3b9c, v40
	v_add_f16_e32 v5, v39, v44
	v_fma_f16 v6, -0.5, v6, v39
	v_sub_f16_e32 v7, v0, v3
	v_fmac_f16_e32 v9, 0x34f2, v76
	v_fmac_f16_e32 v38, 0x34f2, v76
	;; [unrolled: 1-line block ×6, first 2 shown]
	v_add_f16_e32 v5, v5, v49
	v_fmamk_f16 v40, v7, 0xbb9c, v6
	v_sub_f16_e32 v45, v1, v2
	v_sub_f16_e32 v55, v44, v49
	;; [unrolled: 1-line block ×3, first 2 shown]
	v_fmac_f16_e32 v6, 0x3b9c, v7
	v_add_f16_e32 v76, v44, v50
	v_lshrrev_b32_e32 v77, 16, v39
	v_add_f16_e32 v5, v5, v43
	v_fmac_f16_e32 v40, 0xb8b4, v45
	v_add_f16_e32 v55, v55, v62
	v_fmac_f16_e32 v6, 0x38b4, v45
	v_fmac_f16_e32 v39, -0.5, v76
	v_sub_f16_e32 v62, v49, v44
	v_sub_f16_e32 v76, v43, v50
	v_fmac_f16_e32 v56, 0x34f2, v4
	v_fmac_f16_e32 v59, 0x34f2, v4
	v_add_f16_e32 v4, v5, v50
	v_fmac_f16_e32 v40, 0x34f2, v55
	v_fmac_f16_e32 v6, 0x34f2, v55
	v_fmamk_f16 v5, v45, 0x3b9c, v39
	v_add_f16_e32 v55, v1, v2
	v_fmac_f16_e32 v39, 0xbb9c, v45
	v_sub_f16_e32 v44, v44, v50
	v_add_f16_e32 v50, v62, v76
	v_add_f16_e32 v62, v0, v3
	;; [unrolled: 1-line block ×3, first 2 shown]
	v_fma_f16 v55, -0.5, v55, v77
	v_fmac_f16_e32 v5, 0xb8b4, v7
	v_fmac_f16_e32 v39, 0x38b4, v7
	v_sub_f16_e32 v43, v49, v43
	v_fmac_f16_e32 v77, -0.5, v62
	v_add_f16_e32 v7, v45, v1
	v_fmamk_f16 v45, v44, 0x3b9c, v55
	v_fmac_f16_e32 v5, 0x34f2, v50
	v_fmac_f16_e32 v39, 0x34f2, v50
	v_sub_f16_e32 v49, v0, v1
	v_sub_f16_e32 v50, v3, v2
	v_fmac_f16_e32 v55, 0xbb9c, v44
	v_fmamk_f16 v62, v43, 0xbb9c, v77
	v_sub_f16_e32 v0, v1, v0
	v_sub_f16_e32 v1, v2, v3
	v_fmac_f16_e32 v77, 0x3b9c, v43
	v_add_f16_e32 v7, v7, v2
	v_fmac_f16_e32 v45, 0x38b4, v43
	v_add_f16_e32 v2, v49, v50
	v_fmac_f16_e32 v55, 0xb8b4, v43
	v_fmac_f16_e32 v62, 0x38b4, v44
	v_add_f16_e32 v0, v0, v1
	v_fmac_f16_e32 v77, 0xb8b4, v44
	v_fmac_f16_e32 v45, 0x34f2, v2
	;; [unrolled: 1-line block ×3, first 2 shown]
	v_pack_b32_f16 v2, v51, v57
	v_fmac_f16_e32 v62, 0x34f2, v0
	v_fmac_f16_e32 v77, 0x34f2, v0
	v_pack_b32_f16 v0, v46, v52
	v_add_f16_e32 v1, v7, v3
	v_pack_b32_f16 v3, v53, v60
	v_pack_b32_f16 v7, v37, v54
	;; [unrolled: 1-line block ×5, first 2 shown]
	ds_write2_b32 v105, v0, v2 offset1:66
	ds_write2_b32 v105, v3, v7 offset0:132 offset1:198
	ds_write_b32 v105, v37 offset:1056
	ds_write2_b32 v104, v8, v11 offset1:66
	v_pack_b32_f16 v0, v9, v56
	v_pack_b32_f16 v2, v38, v59
	;; [unrolled: 1-line block ×8, first 2 shown]
	ds_write2_b32 v104, v0, v2 offset0:132 offset1:198
	ds_write_b32 v104, v3 offset:1056
	ds_write2_b32 v103, v1, v4 offset1:66
	ds_write2_b32 v103, v5, v7 offset0:132 offset1:198
	ds_write_b32 v103, v6 offset:1056
	s_waitcnt lgkmcnt(0)
	s_barrier
	buffer_gl0_inv
	ds_read2_b32 v[0:1], v63 offset1:110
	ds_read2_b32 v[2:3], v47 offset0:92 offset1:202
	ds_read2_b32 v[4:5], v34 offset0:20 offset1:130
	;; [unrolled: 1-line block ×6, first 2 shown]
	ds_read_b32 v39, v63 offset:6160
	s_waitcnt lgkmcnt(7)
	v_lshrrev_b32_e32 v40, 16, v0
	s_waitcnt lgkmcnt(6)
	v_lshrrev_b32_e32 v41, 16, v3
	;; [unrolled: 2-line block ×6, first 2 shown]
	v_mul_f16_sdwa v57, v16, v41 dst_sel:DWORD dst_unused:UNUSED_PAD src0_sel:WORD_1 src1_sel:DWORD
	v_mul_f16_sdwa v58, v16, v3 dst_sel:DWORD dst_unused:UNUSED_PAD src0_sel:WORD_1 src1_sel:DWORD
	;; [unrolled: 1-line block ×5, first 2 shown]
	v_lshrrev_b32_e32 v49, 16, v5
	v_fmac_f16_e32 v57, v16, v3
	v_fma_f16 v3, v16, v41, -v58
	v_fmac_f16_e32 v59, v17, v4
	v_fma_f16 v4, v17, v42, -v60
	v_fmac_f16_e32 v61, v18, v7
	v_mul_f16_sdwa v7, v18, v7 dst_sel:DWORD dst_unused:UNUSED_PAD src0_sel:WORD_1 src1_sel:DWORD
	v_mul_f16_sdwa v16, v19, v44 dst_sel:DWORD dst_unused:UNUSED_PAD src0_sel:WORD_1 src1_sel:DWORD
	;; [unrolled: 1-line block ×5, first 2 shown]
	s_waitcnt lgkmcnt(1)
	v_lshrrev_b32_e32 v50, 16, v37
	v_lshrrev_b32_e32 v53, 16, v11
	v_fma_f16 v7, v18, v43, -v7
	v_fmac_f16_e32 v16, v19, v8
	v_fma_f16 v8, v19, v44, -v17
	v_fmac_f16_e32 v41, v20, v10
	v_fma_f16 v10, v20, v46, -v42
	v_mul_f16_sdwa v17, v21, v49 dst_sel:DWORD dst_unused:UNUSED_PAD src0_sel:WORD_1 src1_sel:DWORD
	v_mul_f16_sdwa v18, v21, v5 dst_sel:DWORD dst_unused:UNUSED_PAD src0_sel:WORD_1 src1_sel:DWORD
	;; [unrolled: 1-line block ×3, first 2 shown]
	v_lshrrev_b32_e32 v51, 16, v9
	v_lshrrev_b32_e32 v54, 16, v6
	v_mul_f16_sdwa v19, v22, v50 dst_sel:DWORD dst_unused:UNUSED_PAD src0_sel:WORD_1 src1_sel:DWORD
	v_fmac_f16_e32 v17, v21, v5
	v_fma_f16 v5, v21, v49, -v18
	v_fma_f16 v18, v22, v50, -v20
	v_mul_f16_sdwa v20, v12, v53 dst_sel:DWORD dst_unused:UNUSED_PAD src0_sel:WORD_1 src1_sel:DWORD
	v_mul_f16_sdwa v21, v12, v11 dst_sel:DWORD dst_unused:UNUSED_PAD src0_sel:WORD_1 src1_sel:DWORD
	v_lshrrev_b32_e32 v55, 16, v38
	v_mul_f16_sdwa v42, v23, v51 dst_sel:DWORD dst_unused:UNUSED_PAD src0_sel:WORD_1 src1_sel:DWORD
	v_fmac_f16_e32 v19, v22, v37
	v_mul_f16_sdwa v22, v13, v54 dst_sel:DWORD dst_unused:UNUSED_PAD src0_sel:WORD_1 src1_sel:DWORD
	v_mul_f16_sdwa v37, v13, v6 dst_sel:DWORD dst_unused:UNUSED_PAD src0_sel:WORD_1 src1_sel:DWORD
	v_fmac_f16_e32 v20, v12, v11
	v_fma_f16 v11, v12, v53, -v21
	v_add_f16_e32 v12, v59, v61
	s_waitcnt lgkmcnt(0)
	v_lshrrev_b32_e32 v56, 16, v39
	v_fmac_f16_e32 v42, v23, v9
	v_mul_f16_sdwa v9, v23, v9 dst_sel:DWORD dst_unused:UNUSED_PAD src0_sel:WORD_1 src1_sel:DWORD
	v_fmac_f16_e32 v22, v13, v6
	v_fma_f16 v6, v13, v54, -v37
	v_mul_f16_sdwa v13, v14, v55 dst_sel:DWORD dst_unused:UNUSED_PAD src0_sel:WORD_1 src1_sel:DWORD
	v_mul_f16_sdwa v21, v14, v38 dst_sel:DWORD dst_unused:UNUSED_PAD src0_sel:WORD_1 src1_sel:DWORD
	v_add_f16_e32 v37, v0, v57
	v_fma_f16 v12, -0.5, v12, v0
	v_sub_f16_e32 v43, v3, v8
	v_fma_f16 v9, v23, v51, -v9
	v_mul_f16_sdwa v23, v15, v56 dst_sel:DWORD dst_unused:UNUSED_PAD src0_sel:WORD_1 src1_sel:DWORD
	v_fmac_f16_e32 v13, v14, v38
	v_fma_f16 v14, v14, v55, -v21
	v_add_f16_e32 v21, v37, v59
	v_fmamk_f16 v37, v43, 0xbb9c, v12
	v_sub_f16_e32 v38, v4, v7
	v_sub_f16_e32 v44, v57, v59
	;; [unrolled: 1-line block ×3, first 2 shown]
	v_add_f16_e32 v49, v57, v16
	v_fmac_f16_e32 v12, 0x3b9c, v43
	v_fmac_f16_e32 v23, v15, v39
	v_mul_f16_sdwa v39, v15, v39 dst_sel:DWORD dst_unused:UNUSED_PAD src0_sel:WORD_1 src1_sel:DWORD
	v_add_f16_e32 v21, v21, v61
	v_fmac_f16_e32 v37, 0xb8b4, v38
	v_add_f16_e32 v44, v44, v46
	v_fma_f16 v0, -0.5, v49, v0
	v_sub_f16_e32 v46, v59, v57
	v_sub_f16_e32 v49, v61, v16
	v_fmac_f16_e32 v12, 0x38b4, v38
	v_add_f16_e32 v50, v40, v3
	v_add_f16_e32 v51, v4, v7
	v_fma_f16 v15, v15, v56, -v39
	v_add_f16_e32 v21, v21, v16
	v_fmac_f16_e32 v37, 0x34f2, v44
	v_fmamk_f16 v39, v38, 0x3b9c, v0
	v_add_f16_e32 v46, v46, v49
	v_fmac_f16_e32 v0, 0xbb9c, v38
	v_add_f16_e32 v38, v50, v4
	v_fma_f16 v49, -0.5, v51, v40
	v_sub_f16_e32 v16, v57, v16
	v_fmac_f16_e32 v12, 0x34f2, v44
	v_add_f16_e32 v44, v3, v8
	v_sub_f16_e32 v51, v3, v4
	v_sub_f16_e32 v3, v4, v3
	;; [unrolled: 1-line block ×3, first 2 shown]
	v_fmac_f16_e32 v39, 0xb8b4, v43
	v_fmac_f16_e32 v0, 0x38b4, v43
	v_add_f16_e32 v38, v38, v7
	v_fmamk_f16 v43, v16, 0x3b9c, v49
	v_sub_f16_e32 v50, v59, v61
	v_sub_f16_e32 v53, v8, v7
	v_fmac_f16_e32 v40, -0.5, v44
	v_fmac_f16_e32 v49, 0xbb9c, v16
	v_add_f16_e32 v7, v17, v19
	v_add_f16_e32 v3, v3, v4
	;; [unrolled: 1-line block ×3, first 2 shown]
	v_lshrrev_b32_e32 v45, 16, v1
	v_fmac_f16_e32 v39, 0x34f2, v46
	v_fmac_f16_e32 v0, 0x34f2, v46
	v_add_f16_e32 v38, v38, v8
	v_fmac_f16_e32 v43, 0x38b4, v50
	v_add_f16_e32 v44, v51, v53
	v_fmamk_f16 v46, v50, 0xbb9c, v40
	v_fmac_f16_e32 v49, 0xb8b4, v50
	v_fma_f16 v7, -0.5, v7, v1
	v_sub_f16_e32 v8, v10, v9
	v_fmac_f16_e32 v40, 0x3b9c, v50
	v_add_f16_e32 v4, v4, v17
	v_add_f16_e32 v54, v41, v42
	v_fmac_f16_e32 v43, 0x34f2, v44
	v_fmac_f16_e32 v46, 0x38b4, v16
	;; [unrolled: 1-line block ×3, first 2 shown]
	v_fmamk_f16 v44, v8, 0xbb9c, v7
	v_sub_f16_e32 v50, v5, v18
	v_sub_f16_e32 v51, v41, v17
	;; [unrolled: 1-line block ×3, first 2 shown]
	v_fmac_f16_e32 v40, 0xb8b4, v16
	v_add_f16_e32 v4, v4, v19
	v_fmac_f16_e32 v1, -0.5, v54
	v_fmac_f16_e32 v7, 0x3b9c, v8
	v_add_f16_e32 v54, v45, v10
	v_fmac_f16_e32 v46, 0x34f2, v3
	v_fmac_f16_e32 v44, 0xb8b4, v50
	v_add_f16_e32 v16, v51, v53
	v_fmac_f16_e32 v40, 0x34f2, v3
	v_add_f16_e32 v3, v4, v42
	v_fmamk_f16 v4, v50, 0x3b9c, v1
	v_sub_f16_e32 v51, v17, v41
	v_sub_f16_e32 v53, v19, v42
	v_fmac_f16_e32 v7, 0x38b4, v50
	v_add_f16_e32 v55, v5, v18
	v_fmac_f16_e32 v1, 0xbb9c, v50
	v_add_f16_e32 v50, v54, v5
	;; [unrolled: 2-line block ×3, first 2 shown]
	v_fma_f16 v53, -0.5, v55, v45
	v_sub_f16_e32 v41, v41, v42
	v_fmac_f16_e32 v1, 0x38b4, v8
	v_add_f16_e32 v8, v50, v18
	v_add_f16_e32 v42, v10, v9
	v_fmac_f16_e32 v44, 0x34f2, v16
	v_fmac_f16_e32 v7, 0x34f2, v16
	v_fmamk_f16 v16, v41, 0x3b9c, v53
	v_sub_f16_e32 v17, v17, v19
	v_sub_f16_e32 v19, v10, v5
	;; [unrolled: 1-line block ×3, first 2 shown]
	v_fmac_f16_e32 v45, -0.5, v42
	v_add_f16_e32 v8, v8, v9
	v_fmac_f16_e32 v53, 0xbb9c, v41
	v_sub_f16_e32 v5, v5, v10
	v_sub_f16_e32 v9, v18, v9
	v_add_f16_e32 v10, v22, v13
	v_fmac_f16_e32 v16, 0x38b4, v17
	v_add_f16_e32 v19, v19, v50
	v_fmamk_f16 v42, v17, 0xbb9c, v45
	v_fmac_f16_e32 v53, 0xb8b4, v17
	v_add_f16_e32 v5, v5, v9
	v_fmac_f16_e32 v45, 0x3b9c, v17
	v_add_f16_e32 v9, v2, v20
	v_fma_f16 v10, -0.5, v10, v2
	v_sub_f16_e32 v17, v11, v15
	v_fmac_f16_e32 v4, 0x34f2, v51
	v_fmac_f16_e32 v1, 0x34f2, v51
	;; [unrolled: 1-line block ×6, first 2 shown]
	v_add_f16_e32 v9, v9, v22
	v_fmamk_f16 v18, v17, 0xbb9c, v10
	v_sub_f16_e32 v19, v6, v14
	v_sub_f16_e32 v41, v20, v22
	v_sub_f16_e32 v50, v23, v13
	v_fmac_f16_e32 v10, 0x3b9c, v17
	v_add_f16_e32 v51, v20, v23
	v_lshrrev_b32_e32 v52, 16, v2
	v_add_f16_e32 v9, v9, v13
	v_fmac_f16_e32 v18, 0xb8b4, v19
	v_add_f16_e32 v41, v41, v50
	v_fmac_f16_e32 v10, 0x38b4, v19
	v_fmac_f16_e32 v2, -0.5, v51
	v_sub_f16_e32 v50, v22, v20
	v_sub_f16_e32 v51, v13, v23
	v_fmac_f16_e32 v42, 0x34f2, v5
	v_fmac_f16_e32 v45, 0x34f2, v5
	v_add_f16_e32 v5, v9, v23
	v_fmac_f16_e32 v18, 0x34f2, v41
	v_fmac_f16_e32 v10, 0x34f2, v41
	v_fmamk_f16 v9, v19, 0x3b9c, v2
	v_add_f16_e32 v41, v6, v14
	v_fmac_f16_e32 v2, 0xbb9c, v19
	v_sub_f16_e32 v20, v20, v23
	v_add_f16_e32 v23, v50, v51
	v_add_f16_e32 v50, v11, v15
	;; [unrolled: 1-line block ×3, first 2 shown]
	v_fma_f16 v41, -0.5, v41, v52
	v_fmac_f16_e32 v9, 0xb8b4, v17
	v_fmac_f16_e32 v2, 0x38b4, v17
	v_sub_f16_e32 v13, v22, v13
	v_fmac_f16_e32 v52, -0.5, v50
	v_add_f16_e32 v17, v19, v6
	v_fmamk_f16 v19, v20, 0x3b9c, v41
	v_fmac_f16_e32 v9, 0x34f2, v23
	v_fmac_f16_e32 v2, 0x34f2, v23
	v_sub_f16_e32 v22, v11, v6
	v_sub_f16_e32 v23, v15, v14
	v_fmac_f16_e32 v41, 0xbb9c, v20
	v_fmamk_f16 v50, v13, 0xbb9c, v52
	v_sub_f16_e32 v6, v6, v11
	v_sub_f16_e32 v11, v14, v15
	v_fmac_f16_e32 v52, 0x3b9c, v13
	v_add_f16_e32 v17, v17, v14
	v_fmac_f16_e32 v19, 0x38b4, v13
	v_add_f16_e32 v14, v22, v23
	v_fmac_f16_e32 v41, 0xb8b4, v13
	v_fmac_f16_e32 v50, 0x38b4, v20
	v_add_f16_e32 v6, v6, v11
	v_fmac_f16_e32 v52, 0xb8b4, v20
	v_add_f16_e32 v11, v17, v15
	v_fmac_f16_e32 v19, 0x34f2, v14
	v_fmac_f16_e32 v41, 0x34f2, v14
	v_pack_b32_f16 v14, v39, v46
	v_pack_b32_f16 v4, v4, v42
	v_fmac_f16_e32 v50, 0x34f2, v6
	v_fmac_f16_e32 v52, 0x34f2, v6
	v_pack_b32_f16 v6, v21, v38
	v_pack_b32_f16 v3, v3, v8
	;; [unrolled: 1-line block ×5, first 2 shown]
	ds_write2_b32 v34, v14, v4 offset0:20 offset1:130
	v_pack_b32_f16 v4, v5, v11
	ds_write2_b32 v63, v6, v3 offset1:110
	v_pack_b32_f16 v3, v44, v16
	v_pack_b32_f16 v5, v18, v19
	;; [unrolled: 1-line block ×6, first 2 shown]
	ds_write2_b32 v33, v8, v7 offset0:40 offset1:150
	v_pack_b32_f16 v7, v10, v41
	ds_write2_b32 v47, v4, v13 offset0:92 offset1:202
	ds_write2_b32 v35, v3, v5 offset0:56 offset1:166
	;; [unrolled: 1-line block ×4, first 2 shown]
	ds_write_b32 v63, v7 offset:6160
	s_waitcnt lgkmcnt(0)
	s_barrier
	buffer_gl0_inv
	ds_read2_b32 v[0:1], v63 offset1:150
	s_waitcnt lgkmcnt(0)
	v_lshrrev_b32_e32 v4, 16, v0
	v_lshrrev_b32_e32 v12, 16, v1
	v_mul_f16_sdwa v2, v75, v4 dst_sel:DWORD dst_unused:UNUSED_PAD src0_sel:WORD_1 src1_sel:DWORD
	v_mul_f16_sdwa v11, v74, v12 dst_sel:DWORD dst_unused:UNUSED_PAD src0_sel:WORD_1 src1_sel:DWORD
	v_fmac_f16_e32 v2, v75, v0
	v_mul_f16_sdwa v0, v75, v0 dst_sel:DWORD dst_unused:UNUSED_PAD src0_sel:WORD_1 src1_sel:DWORD
	v_fmac_f16_e32 v11, v74, v1
	v_cvt_f32_f16_e32 v2, v2
	v_fma_f16 v0, v75, v4, -v0
	v_cvt_f32_f16_e32 v11, v11
	v_cvt_f64_f32_e32 v[2:3], v2
	v_cvt_f32_f16_e32 v0, v0
	v_cvt_f64_f32_e32 v[4:5], v0
	v_mul_f64 v[2:3], v[2:3], s[4:5]
	v_mul_f64 v[4:5], v[4:5], s[4:5]
	v_and_or_b32 v0, 0x1ff, v3, v2
	v_lshrrev_b32_e32 v2, 8, v3
	v_bfe_u32 v6, v3, 20, 11
	v_cmp_ne_u32_e64 s0, 0, v0
	v_and_or_b32 v4, 0x1ff, v5, v4
	v_lshrrev_b32_e32 v9, 8, v5
	v_bfe_u32 v10, v5, 20, 11
	v_add_nc_u32_e32 v13, 0xfffffc10, v6
	v_cndmask_b32_e64 v0, 0, 1, s0
	v_cmp_ne_u32_e64 s0, 0, v4
	v_lshrrev_b32_e32 v5, 16, v5
	v_and_or_b32 v2, 0xffe, v2, v0
	v_sub_nc_u32_e32 v0, 0x3f1, v6
	v_cndmask_b32_e64 v4, 0, 1, s0
	v_or_b32_e32 v7, 0x1000, v2
	v_med3_i32 v0, v0, 0, 13
	v_and_or_b32 v4, 0xffe, v9, v4
	v_sub_nc_u32_e32 v9, 0x3f1, v10
	v_lshrrev_b32_e32 v8, v0, v7
	v_or_b32_e32 v14, 0x1000, v4
	v_med3_i32 v15, v9, 0, 13
	v_lshlrev_b32_e32 v0, v0, v8
	v_lshrrev_b32_e32 v16, v15, v14
	v_cmp_ne_u32_e64 s0, v0, v7
	v_mad_u64_u32 v[6:7], null, s10, v30, 0
	v_cndmask_b32_e64 v0, 0, 1, s0
	v_cmp_gt_i32_e64 s0, 1, v13
	v_or_b32_e32 v0, v8, v0
	v_cvt_f64_f32_e32 v[8:9], v11
	v_lshl_or_b32 v11, v13, 12, v2
	v_cndmask_b32_e64 v17, v11, v0, s0
	v_lshlrev_b32_e32 v11, v15, v16
	v_mov_b32_e32 v0, v7
	v_add_nc_u32_e32 v15, 0xfffffc10, v10
	v_and_b32_e32 v7, 7, v17
	v_cmp_ne_u32_e64 s0, v11, v14
	v_mad_u64_u32 v[10:11], null, s11, v30, v[0:1]
	v_lshl_or_b32 v11, v15, 12, v4
	v_cmp_eq_u32_e64 s1, 3, v7
	v_cndmask_b32_e64 v14, 0, 1, s0
	v_cmp_lt_i32_e64 s0, 5, v7
	v_cmp_gt_i32_e64 s2, 1, v15
	v_or_b32_e32 v7, v16, v14
	v_mul_f16_sdwa v14, v74, v1 dst_sel:DWORD dst_unused:UNUSED_PAD src0_sel:WORD_1 src1_sel:DWORD
	v_mul_f64 v[0:1], v[8:9], s[4:5]
	v_lshrrev_b32_e32 v8, 2, v17
	s_or_b32 s0, s1, s0
	v_cndmask_b32_e64 v9, v11, v7, s2
	v_fma_f16 v7, v74, v12, -v14
	v_cmp_eq_u32_e64 s2, 0x40f, v13
	v_add_co_ci_u32_e64 v8, s0, 0, v8, s0
	v_cmp_ne_u32_e64 s0, 0, v2
	v_and_b32_e32 v11, 7, v9
	v_cvt_f32_f16_e32 v7, v7
	v_lshrrev_b32_e32 v14, 16, v3
	v_cndmask_b32_e64 v2, 0, 1, s0
	v_cmp_gt_i32_e64 s0, 31, v13
	v_cmp_eq_u32_e64 s1, 3, v11
	v_lshl_or_b32 v2, v2, 9, 0x7c00
	v_cndmask_b32_e64 v12, 0x7c00, v8, s0
	v_cmp_lt_i32_e64 s0, 5, v11
	v_cvt_f64_f32_e32 v[7:8], v7
	v_and_or_b32 v0, 0x1ff, v1, v0
	v_bfe_u32 v17, v1, 20, 11
	v_cndmask_b32_e64 v13, v12, v2, s2
	v_lshrrev_b32_e32 v2, 2, v9
	s_or_b32 s0, s1, s0
	v_add_nc_u32_e32 v9, 0x400, v63
	v_mad_u64_u32 v[11:12], null, s8, v73, 0
	v_add_co_ci_u32_e64 v2, s0, 0, v2, s0
	v_cmp_ne_u32_e64 s0, 0, v4
	v_lshrrev_b32_e32 v4, 8, v1
	v_cndmask_b32_e64 v3, 0, 1, s0
	v_cmp_ne_u32_e64 s0, 0, v0
	v_lshl_or_b32 v18, v3, 9, 0x7c00
	v_cndmask_b32_e64 v0, 0, 1, s0
	v_cmp_gt_i32_e64 s0, 31, v15
	v_and_or_b32 v19, 0xffe, v4, v0
	v_cndmask_b32_e64 v16, 0x7c00, v2, s0
	v_mul_f64 v[2:3], v[7:8], s[4:5]
	ds_read2_b32 v[8:9], v9 offset0:44 offset1:194
	v_sub_nc_u32_e32 v0, 0x3f1, v17
	v_cmp_eq_u32_e64 s0, 0x40f, v15
	v_or_b32_e32 v15, 0x1000, v19
	v_mov_b32_e32 v7, v10
	v_and_or_b32 v10, 0x8000, v14, v13
	v_cndmask_b32_e64 v4, v16, v18, s0
	v_med3_i32 v16, v0, 0, 13
	v_mov_b32_e32 v0, v12
	v_and_b32_e32 v10, 0xffff, v10
	v_and_or_b32 v18, 0x8000, v5, v4
	v_lshrrev_b32_e32 v12, v16, v15
	v_mad_u64_u32 v[4:5], null, s9, v73, v[0:1]
	v_lshlrev_b64 v[5:6], 2, v[6:7]
	v_lshl_or_b32 v18, v18, 16, v10
	v_lshlrev_b32_e32 v0, v16, v12
	s_waitcnt lgkmcnt(0)
	v_lshrrev_b32_e32 v7, 16, v8
	v_and_or_b32 v2, 0x1ff, v3, v2
	v_lshrrev_b32_e32 v14, 8, v3
	v_cmp_ne_u32_e64 s0, v0, v15
	v_bfe_u32 v16, v3, 20, 11
	v_mul_f16_sdwa v13, v72, v7 dst_sel:DWORD dst_unused:UNUSED_PAD src0_sel:WORD_1 src1_sel:DWORD
	v_add_nc_u32_e32 v15, 0xfffffc10, v17
	v_lshrrev_b32_e32 v3, 16, v3
	v_cndmask_b32_e64 v0, 0, 1, s0
	v_cmp_ne_u32_e64 s0, 0, v2
	v_fmac_f16_e32 v13, v72, v8
	v_mul_f16_sdwa v8, v72, v8 dst_sel:DWORD dst_unused:UNUSED_PAD src0_sel:WORD_1 src1_sel:DWORD
	v_or_b32_e32 v0, v12, v0
	v_cndmask_b32_e64 v2, 0, 1, s0
	v_cvt_f32_f16_e32 v13, v13
	v_lshl_or_b32 v12, v15, 12, v19
	v_cmp_gt_i32_e64 s0, 1, v15
	v_fma_f16 v8, v72, v7, -v8
	v_and_or_b32 v2, 0xffe, v14, v2
	v_sub_nc_u32_e32 v14, 0x3f1, v16
	v_cndmask_b32_e64 v0, v12, v0, s0
	v_add_co_u32 v22, s0, s6, v5
	v_med3_i32 v20, v14, 0, 13
	v_cvt_f64_f32_e32 v[13:14], v13
	v_or_b32_e32 v17, 0x1000, v2
	v_and_b32_e32 v10, 7, v0
	v_add_co_ci_u32_e64 v23, s0, s7, v6, s0
	v_lshrrev_b32_e32 v0, 2, v0
	v_lshrrev_b32_e32 v21, v20, v17
	v_cmp_lt_i32_e64 s0, 5, v10
	v_cmp_eq_u32_e64 s1, 3, v10
	v_mov_b32_e32 v12, v4
	v_cvt_f32_f16_e32 v8, v8
	v_lshlrev_b32_e32 v6, v20, v21
	s_or_b32 s0, s1, s0
	v_lshlrev_b64 v[4:5], 2, v[11:12]
	v_add_co_ci_u32_e64 v0, s0, 0, v0, s0
	v_cmp_ne_u32_e64 s2, v6, v17
	v_add_nc_u32_e32 v12, 0xfffffc10, v16
	v_cmp_ne_u32_e64 s0, 0, v19
	v_cndmask_b32_e64 v10, 0, 1, s2
	v_mul_f64 v[6:7], v[13:14], s[4:5]
	v_lshl_or_b32 v11, v12, 12, v2
	v_cndmask_b32_e64 v13, 0, 1, s0
	v_cmp_gt_i32_e64 s0, 1, v12
	v_or_b32_e32 v10, v21, v10
	v_cmp_eq_u32_e64 s2, 0x40f, v15
	v_cndmask_b32_e64 v14, v11, v10, s0
	v_cmp_gt_i32_e64 s0, 31, v15
	v_cvt_f64_f32_e32 v[10:11], v8
	v_lshl_or_b32 v8, v13, 9, 0x7c00
	v_and_b32_e32 v13, 7, v14
	v_cndmask_b32_e64 v0, 0x7c00, v0, s0
	v_add_co_u32 v4, s0, v22, v4
	v_add_co_ci_u32_e64 v5, s0, v23, v5, s0
	v_cmp_lt_i32_e64 s0, 5, v13
	v_cmp_eq_u32_e64 s1, 3, v13
	v_cndmask_b32_e64 v8, v0, v8, s2
	v_lshrrev_b32_e32 v0, 2, v14
	v_and_or_b32 v6, 0x1ff, v7, v6
	v_lshrrev_b32_e32 v15, 8, v7
	s_or_b32 s0, s1, s0
	v_bfe_u32 v16, v7, 20, 11
	v_add_co_ci_u32_e64 v14, s0, 0, v0, s0
	v_cmp_ne_u32_e64 s0, 0, v6
	v_lshrrev_b32_e32 v13, 16, v1
	s_mul_i32 s1, s9, 0x96
	v_mul_f64 v[0:1], v[10:11], s[4:5]
	v_sub_nc_u32_e32 v10, 0x3f1, v16
	v_cndmask_b32_e64 v6, 0, 1, s0
	v_cmp_ne_u32_e64 s0, 0, v2
	v_and_or_b32 v8, 0x8000, v13, v8
	s_mul_hi_u32 s2, s8, 0x96
	v_med3_i32 v10, v10, 0, 13
	v_and_or_b32 v6, 0xffe, v15, v6
	v_cndmask_b32_e64 v2, 0, 1, s0
	v_cmp_gt_i32_e64 s0, 31, v12
	v_lshrrev_b32_e32 v15, 16, v9
	v_and_b32_e32 v8, 0xffff, v8
	s_add_i32 s1, s2, s1
	v_lshl_or_b32 v2, v2, 9, 0x7c00
	v_cndmask_b32_e64 v11, 0x7c00, v14, s0
	v_or_b32_e32 v14, 0x1000, v6
	v_cmp_eq_u32_e64 s0, 0x40f, v12
	v_mul_f16_sdwa v12, v71, v15 dst_sel:DWORD dst_unused:UNUSED_PAD src0_sel:WORD_1 src1_sel:DWORD
	global_store_dword v[4:5], v18, off
	v_cndmask_b32_e64 v2, v11, v2, s0
	v_lshrrev_b32_e32 v11, v10, v14
	v_fmac_f16_e32 v12, v71, v9
	v_and_or_b32 v0, 0x1ff, v1, v0
	v_mul_f16_sdwa v9, v71, v9 dst_sel:DWORD dst_unused:UNUSED_PAD src0_sel:WORD_1 src1_sel:DWORD
	v_and_or_b32 v13, 0x8000, v3, v2
	v_lshlrev_b32_e32 v2, v10, v11
	v_lshl_or_b32 v13, v13, 16, v8
	v_cmp_ne_u32_e64 s0, v2, v14
	v_cvt_f32_f16_e32 v2, v12
	v_add_nc_u32_e32 v12, 0xfffffc10, v16
	v_lshrrev_b32_e32 v14, 8, v1
	v_bfe_u32 v16, v1, 20, 11
	v_cndmask_b32_e64 v10, 0, 1, s0
	v_cmp_ne_u32_e64 s0, 0, v0
	v_cvt_f64_f32_e32 v[2:3], v2
	v_or_b32_e32 v10, v11, v10
	v_cndmask_b32_e64 v0, 0, 1, s0
	v_lshl_or_b32 v11, v12, 12, v6
	v_cmp_gt_i32_e64 s0, 1, v12
	v_and_or_b32 v0, 0xffe, v14, v0
	v_sub_nc_u32_e32 v14, 0x3f1, v16
	v_cndmask_b32_e64 v10, v11, v10, s0
	s_mul_i32 s0, s8, 0x96
	v_or_b32_e32 v11, 0x1000, v0
	v_med3_i32 v14, v14, 0, 13
	s_lshl_b64 s[6:7], s[0:1], 2
	v_and_b32_e32 v8, 7, v10
	v_add_co_u32 v4, s0, v4, s6
	v_lshrrev_b32_e32 v17, v14, v11
	v_add_co_ci_u32_e64 v5, s0, s7, v5, s0
	v_mul_f64 v[2:3], v[2:3], s[4:5]
	v_cmp_lt_i32_e64 s0, 5, v8
	v_lshlrev_b32_e32 v14, v14, v17
	v_cmp_eq_u32_e64 s1, 3, v8
	v_fma_f16 v8, v71, v15, -v9
	v_lshrrev_b32_e32 v9, 2, v10
	global_store_dword v[4:5], v13, off
	v_cmp_ne_u32_e64 s2, v14, v11
	s_or_b32 s0, s1, s0
	v_cvt_f32_f16_e32 v8, v8
	v_add_co_ci_u32_e64 v15, s0, 0, v9, s0
	v_cndmask_b32_e64 v10, 0, 1, s2
	v_add_nc_u32_e32 v14, 0xfffffc10, v16
	v_cmp_ne_u32_e64 s0, 0, v6
	v_add_nc_u32_e32 v11, 0x800, v63
	v_cvt_f64_f32_e32 v[8:9], v8
	v_or_b32_e32 v16, v17, v10
	v_lshl_or_b32 v17, v14, 12, v0
	v_cndmask_b32_e64 v6, 0, 1, s0
	v_cmp_gt_i32_e64 s0, 1, v14
	ds_read2_b32 v[10:11], v11 offset0:88 offset1:238
	v_and_or_b32 v2, 0x1ff, v3, v2
	v_lshrrev_b32_e32 v18, 8, v3
	v_lshl_or_b32 v6, v6, 9, 0x7c00
	v_cndmask_b32_e64 v16, v17, v16, s0
	v_cmp_gt_i32_e64 s0, 31, v12
	v_bfe_u32 v19, v3, 20, 11
	v_lshrrev_b32_e32 v3, 16, v3
	v_and_b32_e32 v17, 7, v16
	v_cndmask_b32_e64 v15, 0x7c00, v15, s0
	v_cmp_ne_u32_e64 s0, 0, v2
	v_cmp_eq_u32_e64 s1, 3, v17
	v_cndmask_b32_e64 v2, 0, 1, s0
	v_cmp_eq_u32_e64 s0, 0x40f, v12
	v_and_or_b32 v2, 0xffe, v18, v2
	v_cndmask_b32_e64 v12, v15, v6, s0
	v_cmp_lt_i32_e64 s0, 5, v17
	v_lshrrev_b32_e32 v15, 16, v7
	v_mul_f64 v[6:7], v[8:9], s[4:5]
	v_lshrrev_b32_e32 v9, 2, v16
	v_sub_nc_u32_e32 v18, 0x3f1, v19
	s_waitcnt lgkmcnt(0)
	v_lshrrev_b32_e32 v8, 16, v10
	s_or_b32 s0, s1, s0
	v_or_b32_e32 v16, 0x1000, v2
	v_add_co_ci_u32_e64 v9, s0, 0, v9, s0
	v_med3_i32 v17, v18, 0, 13
	v_cmp_ne_u32_e64 s0, 0, v0
	v_mul_f16_sdwa v18, v70, v8 dst_sel:DWORD dst_unused:UNUSED_PAD src0_sel:WORD_1 src1_sel:DWORD
	v_and_or_b32 v12, 0x8000, v15, v12
	v_lshrrev_b32_e32 v20, v17, v16
	v_cndmask_b32_e64 v0, 0, 1, s0
	v_cmp_gt_i32_e64 s0, 31, v14
	v_fmac_f16_e32 v18, v70, v10
	v_and_b32_e32 v12, 0xffff, v12
	v_lshlrev_b32_e32 v15, v17, v20
	v_lshl_or_b32 v0, v0, 9, 0x7c00
	v_cndmask_b32_e64 v9, 0x7c00, v9, s0
	v_cmp_eq_u32_e64 s0, 0x40f, v14
	v_cvt_f32_f16_e32 v17, v18
	v_and_or_b32 v6, 0x1ff, v7, v6
	v_lshrrev_b32_e32 v14, 16, v1
	v_bfe_u32 v18, v7, 20, 11
	v_cndmask_b32_e64 v9, v9, v0, s0
	v_cmp_ne_u32_e64 s0, v15, v16
	v_cvt_f64_f32_e32 v[0:1], v17
	v_add_nc_u32_e32 v16, 0xfffffc10, v19
	v_lshrrev_b32_e32 v17, 8, v7
	v_and_or_b32 v9, 0x8000, v14, v9
	v_cndmask_b32_e64 v15, 0, 1, s0
	v_cmp_ne_u32_e64 s0, 0, v6
	v_mul_f16_sdwa v10, v70, v10 dst_sel:DWORD dst_unused:UNUSED_PAD src0_sel:WORD_1 src1_sel:DWORD
	v_lshrrev_b32_e32 v7, 16, v7
	v_lshl_or_b32 v12, v9, 16, v12
	v_or_b32_e32 v14, v20, v15
	v_cndmask_b32_e64 v6, 0, 1, s0
	v_lshl_or_b32 v15, v16, 12, v2
	v_cmp_gt_i32_e64 s0, 1, v16
	v_fma_f16 v8, v70, v8, -v10
	v_and_or_b32 v6, 0xffe, v17, v6
	v_sub_nc_u32_e32 v17, 0x3f1, v18
	v_cndmask_b32_e64 v14, v15, v14, s0
	v_add_co_u32 v4, s0, v4, s6
	v_or_b32_e32 v15, 0x1000, v6
	v_med3_i32 v17, v17, 0, 13
	v_and_b32_e32 v9, 7, v14
	v_mul_f64 v[0:1], v[0:1], s[4:5]
	v_add_co_ci_u32_e64 v5, s0, s7, v5, s0
	v_lshrrev_b32_e32 v13, v17, v15
	v_cmp_lt_i32_e64 s0, 5, v9
	v_cmp_eq_u32_e64 s1, 3, v9
	v_lshrrev_b32_e32 v14, 2, v14
	v_cvt_f32_f16_e32 v8, v8
	v_lshlrev_b32_e32 v10, v17, v13
	global_store_dword v[4:5], v12, off
	s_or_b32 s0, s1, s0
	v_add_co_ci_u32_e64 v14, s0, 0, v14, s0
	v_cmp_ne_u32_e64 s2, v10, v15
	v_cmp_ne_u32_e64 s0, 0, v2
	v_cvt_f64_f32_e32 v[8:9], v8
	v_add_nc_u32_e32 v15, 0xfffffc10, v18
	v_lshrrev_b32_e32 v18, 16, v11
	v_cndmask_b32_e64 v10, 0, 1, s2
	v_cndmask_b32_e64 v2, 0, 1, s0
	v_cmp_gt_i32_e64 s0, 31, v16
	v_and_or_b32 v0, 0x1ff, v1, v0
	v_bfe_u32 v17, v1, 20, 11
	v_or_b32_e32 v10, v13, v10
	v_lshl_or_b32 v13, v15, 12, v6
	v_cndmask_b32_e64 v14, 0x7c00, v14, s0
	v_cmp_gt_i32_e64 s0, 1, v15
	v_lshl_or_b32 v2, v2, 9, 0x7c00
	v_cndmask_b32_e64 v10, v13, v10, s0
	v_cmp_ne_u32_e64 s0, 0, v0
	v_lshrrev_b32_e32 v13, 8, v1
	v_cndmask_b32_e64 v0, 0, 1, s0
	v_cmp_eq_u32_e64 s0, 0x40f, v16
	v_mul_f64 v[8:9], v[8:9], s[4:5]
	v_and_or_b32 v0, 0xffe, v13, v0
	v_cndmask_b32_e64 v2, v14, v2, s0
	v_and_b32_e32 v14, 7, v10
	v_sub_nc_u32_e32 v13, 0x3f1, v17
	v_add_nc_u32_e32 v17, 0xfffffc10, v17
	v_or_b32_e32 v16, 0x1000, v0
	v_cmp_lt_i32_e64 s0, 5, v14
	v_cmp_eq_u32_e64 s1, 3, v14
	v_and_or_b32 v14, 0x8000, v3, v2
	v_lshrrev_b32_e32 v2, 2, v10
	v_med3_i32 v13, v13, 0, 13
	v_mul_f16_sdwa v3, v69, v18 dst_sel:DWORD dst_unused:UNUSED_PAD src0_sel:WORD_1 src1_sel:DWORD
	s_or_b32 s0, s1, s0
	v_add_co_ci_u32_e64 v2, s0, 0, v2, s0
	v_lshrrev_b32_e32 v10, v13, v16
	v_cmp_ne_u32_e64 s0, 0, v6
	v_fmac_f16_e32 v3, v69, v11
	v_and_or_b32 v8, 0x1ff, v9, v8
	v_bfe_u32 v20, v9, 20, 11
	v_lshlrev_b32_e32 v13, v13, v10
	v_cndmask_b32_e64 v6, 0, 1, s0
	v_cmp_gt_i32_e64 s0, 31, v15
	v_mul_f16_sdwa v11, v69, v11 dst_sel:DWORD dst_unused:UNUSED_PAD src0_sel:WORD_1 src1_sel:DWORD
	v_lshl_or_b32 v6, v6, 9, 0x7c00
	v_cndmask_b32_e64 v19, 0x7c00, v2, s0
	v_cmp_ne_u32_e64 s0, v13, v16
	v_cvt_f32_f16_e32 v2, v3
	v_lshrrev_b32_e32 v16, 8, v9
	v_lshrrev_b32_e32 v9, 16, v9
	v_cndmask_b32_e64 v13, 0, 1, s0
	v_cmp_ne_u32_e64 s0, 0, v8
	v_cvt_f64_f32_e32 v[2:3], v2
	v_or_b32_e32 v10, v10, v13
	v_cndmask_b32_e64 v8, 0, 1, s0
	v_cmp_eq_u32_e64 s0, 0x40f, v15
	v_sub_nc_u32_e32 v15, 0x3f1, v20
	v_lshl_or_b32 v13, v17, 12, v0
	v_and_or_b32 v8, 0xffe, v16, v8
	v_cndmask_b32_e64 v6, v19, v6, s0
	v_cmp_gt_i32_e64 s0, 1, v17
	v_med3_i32 v15, v15, 0, 13
	v_or_b32_e32 v16, 0x1000, v8
	v_and_or_b32 v6, 0x8000, v7, v6
	v_cndmask_b32_e64 v10, v13, v10, s0
	v_and_b32_e32 v7, 0xffff, v14
	v_lshrrev_b32_e32 v12, v15, v16
	v_and_b32_e32 v13, 7, v10
	v_mul_f64 v[2:3], v[2:3], s[4:5]
	v_lshl_or_b32 v14, v6, 16, v7
	v_lshlrev_b32_e32 v6, v15, v12
	v_fma_f16 v7, v69, v18, -v11
	v_cmp_lt_i32_e64 s0, 5, v13
	v_cmp_eq_u32_e64 s1, 3, v13
	v_lshrrev_b32_e32 v10, 2, v10
	v_cmp_ne_u32_e64 s2, v6, v16
	v_cvt_f32_f16_e32 v7, v7
	v_add_nc_u32_e32 v13, 0xfffffc10, v20
	s_or_b32 s0, s1, s0
	v_cndmask_b32_e64 v6, 0, 1, s2
	v_add_co_ci_u32_e64 v15, s0, 0, v10, s0
	v_cmp_ne_u32_e64 s0, 0, v0
	v_lshl_or_b32 v11, v13, 12, v8
	v_or_b32_e32 v10, v12, v6
	v_cvt_f64_f32_e32 v[6:7], v7
	v_add_nc_u32_e32 v12, 0xe00, v63
	v_cndmask_b32_e64 v0, 0, 1, s0
	v_cmp_gt_i32_e64 s0, 1, v13
	v_and_or_b32 v2, 0x1ff, v3, v2
	v_lshrrev_b32_e32 v18, 8, v3
	v_bfe_u32 v19, v3, 20, 11
	v_lshl_or_b32 v0, v0, 9, 0x7c00
	v_cndmask_b32_e64 v16, v11, v10, s0
	v_cmp_gt_i32_e64 s0, 31, v17
	ds_read2_b32 v[10:11], v12 offset0:4 offset1:154
	v_cndmask_b32_e64 v12, 0x7c00, v15, s0
	v_cmp_ne_u32_e64 s0, 0, v2
	v_and_b32_e32 v15, 7, v16
	v_cndmask_b32_e64 v2, 0, 1, s0
	v_cmp_eq_u32_e64 s0, 0x40f, v17
	v_cmp_eq_u32_e64 s1, 3, v15
	v_lshrrev_b32_e32 v17, 16, v1
	v_and_or_b32 v2, 0xffe, v18, v2
	v_cndmask_b32_e64 v12, v12, v0, s0
	v_cmp_lt_i32_e64 s0, 5, v15
	v_mul_f64 v[0:1], v[6:7], s[4:5]
	v_lshrrev_b32_e32 v6, 2, v16
	v_sub_nc_u32_e32 v18, 0x3f1, v19
	v_or_b32_e32 v7, 0x1000, v2
	s_or_b32 s0, s1, s0
	s_waitcnt lgkmcnt(0)
	v_lshrrev_b32_e32 v16, 16, v10
	v_add_co_ci_u32_e64 v6, s0, 0, v6, s0
	v_med3_i32 v15, v18, 0, 13
	v_cmp_ne_u32_e64 s0, 0, v8
	v_mul_f16_sdwa v20, v68, v16 dst_sel:DWORD dst_unused:UNUSED_PAD src0_sel:WORD_1 src1_sel:DWORD
	v_and_or_b32 v12, 0x8000, v17, v12
	v_lshrrev_b32_e32 v18, v15, v7
	v_cndmask_b32_e64 v8, 0, 1, s0
	v_cmp_gt_i32_e64 s0, 31, v13
	v_fmac_f16_e32 v20, v68, v10
	v_and_b32_e32 v12, 0xffff, v12
	v_lshlrev_b32_e32 v15, v15, v18
	v_lshl_or_b32 v8, v8, 9, 0x7c00
	v_cndmask_b32_e64 v6, 0x7c00, v6, s0
	v_cmp_eq_u32_e64 s0, 0x40f, v13
	v_and_or_b32 v0, 0x1ff, v1, v0
	v_lshrrev_b32_e32 v17, 8, v1
	v_mul_f16_sdwa v10, v68, v10 dst_sel:DWORD dst_unused:UNUSED_PAD src0_sel:WORD_1 src1_sel:DWORD
	v_cndmask_b32_e64 v8, v6, v8, s0
	v_cmp_ne_u32_e64 s0, v15, v7
	v_cvt_f32_f16_e32 v6, v20
	v_add_nc_u32_e32 v15, 0xfffffc10, v19
	v_bfe_u32 v19, v1, 20, 11
	v_and_or_b32 v8, 0x8000, v9, v8
	v_cndmask_b32_e64 v13, 0, 1, s0
	v_cmp_ne_u32_e64 s0, 0, v0
	v_cvt_f64_f32_e32 v[6:7], v6
	v_fma_f16 v10, v68, v16, -v10
	v_lshl_or_b32 v20, v8, 16, v12
	v_or_b32_e32 v9, v18, v13
	v_cndmask_b32_e64 v0, 0, 1, s0
	v_lshl_or_b32 v13, v15, 12, v2
	v_cmp_gt_i32_e64 s0, 1, v15
	v_add_nc_u32_e32 v16, 0xfffffc10, v19
	v_cvt_f32_f16_e32 v10, v10
	v_and_or_b32 v0, 0xffe, v17, v0
	v_sub_nc_u32_e32 v17, 0x3f1, v19
	v_cndmask_b32_e64 v13, v13, v9, s0
	v_add_co_u32 v4, s0, v4, s6
	v_or_b32_e32 v18, 0x1000, v0
	v_med3_i32 v17, v17, 0, 13
	v_add_co_ci_u32_e64 v5, s0, s7, v5, s0
	v_and_b32_e32 v12, 7, v13
	v_add_co_u32 v8, s0, v4, s6
	v_lshrrev_b32_e32 v21, v17, v18
	v_mul_f64 v[6:7], v[6:7], s[4:5]
	v_add_co_ci_u32_e64 v9, s0, s7, v5, s0
	v_cmp_lt_i32_e64 s0, 5, v12
	v_lshlrev_b32_e32 v17, v17, v21
	v_cmp_eq_u32_e64 s1, 3, v12
	v_lshrrev_b32_e32 v12, 2, v13
	v_lshl_or_b32 v19, v16, 12, v0
	v_cmp_ne_u32_e64 s2, v17, v18
	s_or_b32 s0, s1, s0
	v_add_co_ci_u32_e64 v17, s0, 0, v12, s0
	v_cndmask_b32_e64 v13, 0, 1, s2
	v_cmp_ne_u32_e64 s0, 0, v2
	v_or_b32_e32 v18, v21, v13
	v_cndmask_b32_e64 v2, 0, 1, s0
	v_cmp_gt_i32_e64 s0, 1, v16
	v_cvt_f64_f32_e32 v[12:13], v10
	v_and_or_b32 v6, 0x1ff, v7, v6
	v_bfe_u32 v21, v7, 20, 11
	v_lshl_or_b32 v2, v2, 9, 0x7c00
	v_cndmask_b32_e64 v10, v19, v18, s0
	v_cmp_gt_i32_e64 s0, 31, v15
	v_lshrrev_b32_e32 v19, 8, v7
	v_and_b32_e32 v18, 7, v10
	v_cndmask_b32_e64 v17, 0x7c00, v17, s0
	v_cmp_ne_u32_e64 s0, 0, v6
	v_lshrrev_b32_e32 v10, 2, v10
	v_cmp_eq_u32_e64 s1, 3, v18
	v_cndmask_b32_e64 v6, 0, 1, s0
	v_cmp_eq_u32_e64 s0, 0x40f, v15
	v_and_or_b32 v6, 0xffe, v19, v6
	v_cndmask_b32_e64 v15, v17, v2, s0
	v_cmp_lt_i32_e64 s0, 5, v18
	v_sub_nc_u32_e32 v2, 0x3f1, v21
	v_lshrrev_b32_e32 v18, 16, v11
	v_lshrrev_b32_e32 v17, 16, v3
	v_or_b32_e32 v19, 0x1000, v6
	s_or_b32 s0, s1, s0
	v_med3_i32 v22, v2, 0, 13
	v_mul_f64 v[2:3], v[12:13], s[4:5]
	v_add_co_ci_u32_e64 v10, s0, 0, v10, s0
	v_mul_f16_sdwa v12, v67, v18 dst_sel:DWORD dst_unused:UNUSED_PAD src0_sel:WORD_1 src1_sel:DWORD
	v_cmp_ne_u32_e64 s0, 0, v0
	v_lshrrev_b32_e32 v13, v22, v19
	v_and_or_b32 v15, 0x8000, v17, v15
	v_fmac_f16_e32 v12, v67, v11
	v_cndmask_b32_e64 v0, 0, 1, s0
	v_cmp_gt_i32_e64 s0, 31, v16
	v_lshlrev_b32_e32 v17, v22, v13
	v_and_b32_e32 v15, 0xffff, v15
	v_cvt_f32_f16_e32 v12, v12
	v_lshl_or_b32 v0, v0, 9, 0x7c00
	v_cndmask_b32_e64 v10, 0x7c00, v10, s0
	v_cmp_eq_u32_e64 s0, 0x40f, v16
	v_lshrrev_b32_e32 v16, 16, v1
	v_cndmask_b32_e64 v10, v10, v0, s0
	v_cvt_f64_f32_e32 v[0:1], v12
	v_cmp_ne_u32_e64 s0, v17, v19
	v_and_or_b32 v2, 0x1ff, v3, v2
	v_add_nc_u32_e32 v17, 0xfffffc10, v21
	v_and_or_b32 v10, 0x8000, v16, v10
	v_lshrrev_b32_e32 v16, 8, v3
	v_cndmask_b32_e64 v12, 0, 1, s0
	v_cmp_ne_u32_e64 s0, 0, v2
	v_bfe_u32 v19, v3, 20, 11
	v_lshl_or_b32 v10, v10, 16, v15
	v_or_b32_e32 v12, v13, v12
	v_cndmask_b32_e64 v2, 0, 1, s0
	v_lshl_or_b32 v13, v17, 12, v6
	v_cmp_gt_i32_e64 s0, 1, v17
	v_and_or_b32 v2, 0xffe, v16, v2
	v_sub_nc_u32_e32 v16, 0x3f1, v19
	v_cndmask_b32_e64 v15, v13, v12, s0
	v_add_co_u32 v12, s0, v8, s6
	v_mul_f64 v[0:1], v[0:1], s[4:5]
	v_or_b32_e32 v21, 0x1000, v2
	v_med3_i32 v16, v16, 0, 13
	v_add_co_ci_u32_e64 v13, s0, s7, v9, s0
	v_and_b32_e32 v22, 7, v15
	global_store_dword v[4:5], v14, off
	global_store_dword v[8:9], v20, off
	;; [unrolled: 1-line block ×3, first 2 shown]
	v_lshrrev_b32_e32 v10, v16, v21
	v_lshrrev_b32_e32 v5, 2, v15
	v_mul_f16_sdwa v4, v67, v11 dst_sel:DWORD dst_unused:UNUSED_PAD src0_sel:WORD_1 src1_sel:DWORD
	v_cmp_lt_i32_e64 s0, 5, v22
	v_cmp_eq_u32_e64 s1, 3, v22
	v_lshlrev_b32_e32 v8, v16, v10
	v_add_nc_u32_e32 v9, 0x1200, v63
	v_fma_f16 v11, v67, v18, -v4
	s_or_b32 s0, s1, s0
	v_add_co_ci_u32_e64 v14, s0, 0, v5, s0
	v_cmp_ne_u32_e64 s0, v8, v21
	ds_read2_b32 v[4:5], v9 offset0:48 offset1:198
	v_and_or_b32 v0, 0x1ff, v1, v0
	v_cvt_f32_f16_e32 v8, v11
	v_add_nc_u32_e32 v11, 0xfffffc10, v19
	v_cndmask_b32_e64 v15, 0, 1, s0
	v_cmp_gt_i32_e64 s0, 31, v17
	v_lshrrev_b32_e32 v16, 8, v1
	v_cvt_f64_f32_e32 v[8:9], v8
	v_bfe_u32 v18, v1, 20, 11
	v_or_b32_e32 v10, v10, v15
	v_cndmask_b32_e64 v14, 0x7c00, v14, s0
	v_cmp_ne_u32_e64 s0, 0, v0
	v_lshl_or_b32 v15, v11, 12, v2
	v_cndmask_b32_e64 v0, 0, 1, s0
	v_cmp_ne_u32_e64 s0, 0, v6
	v_and_or_b32 v0, 0xffe, v16, v0
	v_cndmask_b32_e64 v6, 0, 1, s0
	v_cmp_gt_i32_e64 s0, 1, v11
	s_waitcnt lgkmcnt(0)
	v_lshrrev_b32_e32 v16, 16, v4
	v_or_b32_e32 v20, 0x1000, v0
	v_lshl_or_b32 v6, v6, 9, 0x7c00
	v_cndmask_b32_e64 v10, v15, v10, s0
	v_sub_nc_u32_e32 v15, 0x3f1, v18
	v_cmp_eq_u32_e64 s0, 0x40f, v17
	v_mul_f16_sdwa v21, v66, v16 dst_sel:DWORD dst_unused:UNUSED_PAD src0_sel:WORD_1 src1_sel:DWORD
	v_mul_f64 v[8:9], v[8:9], s[4:5]
	v_and_b32_e32 v19, 7, v10
	v_med3_i32 v15, v15, 0, 13
	v_cndmask_b32_e64 v14, v14, v6, s0
	v_lshrrev_b32_e32 v6, 2, v10
	v_fmac_f16_e32 v21, v66, v4
	v_cmp_lt_i32_e64 s0, 5, v19
	v_cmp_eq_u32_e64 s1, 3, v19
	v_lshrrev_b32_e32 v17, v15, v20
	v_lshrrev_b32_e32 v19, 16, v7
	v_cvt_f32_f16_e32 v7, v21
	v_add_nc_u32_e32 v18, 0xfffffc10, v18
	s_or_b32 s0, s1, s0
	v_lshlrev_b32_e32 v10, v15, v17
	v_add_co_ci_u32_e64 v15, s0, 0, v6, s0
	v_cmp_ne_u32_e64 s0, 0, v2
	v_cvt_f64_f32_e32 v[6:7], v7
	v_mul_f16_sdwa v4, v66, v4 dst_sel:DWORD dst_unused:UNUSED_PAD src0_sel:WORD_1 src1_sel:DWORD
	v_cndmask_b32_e64 v2, 0, 1, s0
	v_cmp_ne_u32_e64 s0, v10, v20
	v_and_or_b32 v8, 0x1ff, v9, v8
	v_lshrrev_b32_e32 v20, 16, v3
	v_fma_f16 v4, v66, v16, -v4
	v_lshl_or_b32 v2, v2, 9, 0x7c00
	v_cndmask_b32_e64 v10, 0, 1, s0
	v_cmp_gt_i32_e64 s0, 31, v11
	v_cvt_f32_f16_e32 v4, v4
	v_or_b32_e32 v10, v17, v10
	v_cndmask_b32_e64 v15, 0x7c00, v15, s0
	v_cmp_eq_u32_e64 s0, 0x40f, v11
	v_lshl_or_b32 v17, v18, 12, v0
	v_cndmask_b32_e64 v11, v15, v2, s0
	v_cmp_gt_i32_e64 s0, 1, v18
	v_lshrrev_b32_e32 v15, 8, v9
	v_mul_f64 v[2:3], v[6:7], s[4:5]
	v_and_or_b32 v7, 0x8000, v19, v14
	v_and_or_b32 v11, 0x8000, v20, v11
	v_cndmask_b32_e64 v10, v17, v10, s0
	v_cmp_ne_u32_e64 s0, 0, v8
	v_bfe_u32 v17, v9, 20, 11
	v_and_b32_e32 v7, 0xffff, v7
	v_and_b32_e32 v21, 7, v10
	v_cndmask_b32_e64 v8, 0, 1, s0
	v_sub_nc_u32_e32 v6, 0x3f1, v17
	v_lshrrev_b32_e32 v10, 2, v10
	v_lshl_or_b32 v16, v11, 16, v7
	v_cmp_lt_i32_e64 s0, 5, v21
	v_and_or_b32 v8, 0xffe, v15, v8
	v_med3_i32 v6, v6, 0, 13
	v_cmp_eq_u32_e64 s1, 3, v21
	v_lshrrev_b32_e32 v21, 16, v5
	v_or_b32_e32 v14, 0x1000, v8
	s_or_b32 s0, s1, s0
	v_and_or_b32 v2, 0x1ff, v3, v2
	v_add_co_ci_u32_e64 v10, s0, 0, v10, s0
	v_lshrrev_b32_e32 v15, v6, v14
	v_cmp_gt_i32_e64 s0, 31, v18
	v_lshlrev_b32_e32 v6, v6, v15
	v_cndmask_b32_e64 v10, 0x7c00, v10, s0
	v_cmp_ne_u32_e64 s0, v6, v14
	v_cvt_f64_f32_e32 v[6:7], v4
	v_add_nc_u32_e32 v4, 0xfffffc10, v17
	v_lshrrev_b32_e32 v14, 8, v3
	v_bfe_u32 v17, v3, 20, 11
	v_cndmask_b32_e64 v11, 0, 1, s0
	v_cmp_ne_u32_e64 s0, 0, v2
	v_or_b32_e32 v11, v15, v11
	v_cndmask_b32_e64 v2, 0, 1, s0
	v_cmp_ne_u32_e64 s0, 0, v0
	v_lshl_or_b32 v15, v4, 12, v8
	v_and_or_b32 v2, 0xffe, v14, v2
	v_cndmask_b32_e64 v0, 0, 1, s0
	v_cmp_gt_i32_e64 s0, 1, v4
	v_sub_nc_u32_e32 v14, 0x3f1, v17
	v_lshl_or_b32 v0, v0, 9, 0x7c00
	v_cndmask_b32_e64 v11, v15, v11, s0
	v_cmp_eq_u32_e64 s0, 0x40f, v18
	v_or_b32_e32 v15, 0x1000, v2
	v_med3_i32 v14, v14, 0, 13
	v_lshrrev_b32_e32 v18, 16, v1
	v_and_b32_e32 v19, 7, v11
	v_cndmask_b32_e64 v10, v10, v0, s0
	v_mul_f64 v[0:1], v[6:7], s[4:5]
	v_lshrrev_b32_e32 v20, v14, v15
	v_add_co_u32 v6, s0, v12, s6
	v_add_co_ci_u32_e64 v7, s0, s7, v13, s0
	v_mul_f16_sdwa v12, v65, v21 dst_sel:DWORD dst_unused:UNUSED_PAD src0_sel:WORD_1 src1_sel:DWORD
	v_and_or_b32 v13, 0x8000, v18, v10
	v_lshlrev_b32_e32 v10, v14, v20
	v_cmp_lt_i32_e64 s0, 5, v19
	v_cmp_eq_u32_e64 s1, 3, v19
	v_lshrrev_b32_e32 v11, 2, v11
	v_fmac_f16_e32 v12, v65, v5
	v_cmp_ne_u32_e64 s2, v10, v15
	v_add_nc_u32_e32 v14, 0xfffffc10, v17
	s_or_b32 s0, s1, s0
	v_mul_f16_sdwa v5, v65, v5 dst_sel:DWORD dst_unused:UNUSED_PAD src0_sel:WORD_1 src1_sel:DWORD
	v_add_co_ci_u32_e64 v15, s0, 0, v11, s0
	v_cndmask_b32_e64 v10, 0, 1, s2
	v_cvt_f32_f16_e32 v12, v12
	v_cmp_ne_u32_e64 s0, 0, v8
	v_and_or_b32 v0, 0x1ff, v1, v0
	v_bfe_u32 v18, v1, 20, 11
	v_or_b32_e32 v17, v20, v10
	v_cvt_f64_f32_e32 v[10:11], v12
	v_lshl_or_b32 v12, v14, 12, v2
	v_cndmask_b32_e64 v8, 0, 1, s0
	v_cmp_gt_i32_e64 s0, 1, v14
	v_fma_f16 v5, v65, v21, -v5
	v_lshl_or_b32 v8, v8, 9, 0x7c00
	v_cndmask_b32_e64 v12, v12, v17, s0
	v_cmp_ne_u32_e64 s0, 0, v0
	v_lshrrev_b32_e32 v17, 8, v1
	v_and_b32_e32 v19, 7, v12
	v_cndmask_b32_e64 v0, 0, 1, s0
	v_cmp_gt_i32_e64 s0, 31, v4
	v_cmp_eq_u32_e64 s1, 3, v19
	v_and_or_b32 v0, 0xffe, v17, v0
	v_cndmask_b32_e64 v15, 0x7c00, v15, s0
	v_cmp_eq_u32_e64 s0, 0x40f, v4
	v_lshrrev_b32_e32 v17, 16, v9
	v_or_b32_e32 v20, 0x1000, v0
	v_cndmask_b32_e64 v4, v15, v8, s0
	v_sub_nc_u32_e32 v15, 0x3f1, v18
	v_cmp_lt_i32_e64 s0, 5, v19
	v_mul_f64 v[8:9], v[10:11], s[4:5]
	v_lshrrev_b32_e32 v11, 2, v12
	v_and_or_b32 v4, 0x8000, v17, v4
	v_med3_i32 v10, v15, 0, 13
	s_or_b32 s0, s1, s0
	v_and_b32_e32 v12, 0xffff, v13
	v_add_co_ci_u32_e64 v11, s0, 0, v11, s0
	v_lshrrev_b32_e32 v13, v10, v20
	v_cmp_ne_u32_e64 s0, 0, v2
	v_lshl_or_b32 v12, v4, 16, v12
	ds_read_b32 v15, v63 offset:6000
	v_add_nc_u32_e32 v17, 0xfffffc10, v18
	v_lshlrev_b32_e32 v4, v10, v13
	v_cndmask_b32_e64 v2, 0, 1, s0
	v_cmp_gt_i32_e64 s0, 31, v14
	v_lshrrev_b32_e32 v18, 16, v3
	v_lshl_or_b32 v2, v2, 9, 0x7c00
	v_cndmask_b32_e64 v10, 0x7c00, v11, s0
	v_cmp_ne_u32_e64 s0, v4, v20
	v_and_or_b32 v8, 0x1ff, v9, v8
	v_lshl_or_b32 v11, v17, 12, v0
	v_cndmask_b32_e64 v4, 0, 1, s0
	v_cmp_eq_u32_e64 s0, 0x40f, v14
	v_bfe_u32 v14, v9, 20, 11
	v_cndmask_b32_e64 v10, v10, v2, s0
	v_cmp_ne_u32_e64 s0, 0, v8
	v_or_b32_e32 v2, v13, v4
	v_cvt_f32_f16_e32 v4, v5
	v_lshrrev_b32_e32 v13, 8, v9
	v_and_or_b32 v18, 0x8000, v18, v10
	v_cndmask_b32_e64 v8, 0, 1, s0
	v_cmp_gt_i32_e64 s0, 1, v17
	v_cvt_f64_f32_e32 v[4:5], v4
	v_lshrrev_b32_e32 v9, 16, v9
	v_and_or_b32 v8, 0xffe, v13, v8
	v_cndmask_b32_e64 v11, v11, v2, s0
	v_sub_nc_u32_e32 v2, 0x3f1, v14
	s_waitcnt lgkmcnt(0)
	v_lshrrev_b32_e32 v13, 16, v15
	v_add_nc_u32_e32 v14, 0xfffffc10, v14
	v_or_b32_e32 v20, 0x1000, v8
	v_and_b32_e32 v19, 7, v11
	v_med3_i32 v21, v2, 0, 13
	v_mul_f16_sdwa v22, v64, v13 dst_sel:DWORD dst_unused:UNUSED_PAD src0_sel:WORD_1 src1_sel:DWORD
	v_add_co_u32 v2, s0, v6, s6
	v_add_co_ci_u32_e64 v3, s0, s7, v7, s0
	v_lshrrev_b32_e32 v23, v21, v20
	v_fmac_f16_e32 v22, v64, v15
	v_cmp_lt_i32_e64 s0, 5, v19
	v_cmp_eq_u32_e64 s1, 3, v19
	v_lshrrev_b32_e32 v10, 2, v11
	v_lshlrev_b32_e32 v19, v21, v23
	v_cvt_f32_f16_e32 v11, v22
	v_mul_f64 v[4:5], v[4:5], s[4:5]
	s_or_b32 s0, s1, s0
	v_mul_f16_sdwa v15, v64, v15 dst_sel:DWORD dst_unused:UNUSED_PAD src0_sel:WORD_1 src1_sel:DWORD
	v_add_co_ci_u32_e64 v21, s0, 0, v10, s0
	v_cmp_ne_u32_e64 s0, v19, v20
	v_cvt_f64_f32_e32 v[10:11], v11
	v_lshl_or_b32 v20, v14, 12, v8
	v_fma_f16 v13, v64, v13, -v15
	v_cndmask_b32_e64 v19, 0, 1, s0
	v_cmp_ne_u32_e64 s0, 0, v0
	v_cvt_f32_f16_e32 v13, v13
	v_or_b32_e32 v19, v23, v19
	v_cndmask_b32_e64 v0, 0, 1, s0
	v_cmp_gt_i32_e64 s0, 31, v17
	v_lshl_or_b32 v0, v0, 9, 0x7c00
	v_cndmask_b32_e64 v15, 0x7c00, v21, s0
	v_cmp_gt_i32_e64 s0, 1, v14
	v_and_or_b32 v4, 0x1ff, v5, v4
	v_bfe_u32 v21, v5, 20, 11
	v_cndmask_b32_e64 v19, v20, v19, s0
	v_cmp_eq_u32_e64 s0, 0x40f, v17
	v_mul_f64 v[10:11], v[10:11], s[4:5]
	v_lshrrev_b32_e32 v17, 16, v1
	v_lshrrev_b32_e32 v20, 8, v5
	;; [unrolled: 1-line block ×3, first 2 shown]
	v_cndmask_b32_e64 v15, v15, v0, s0
	v_cvt_f64_f32_e32 v[0:1], v13
	v_cmp_ne_u32_e64 s0, 0, v4
	v_and_b32_e32 v13, 7, v19
	v_and_or_b32 v15, 0x8000, v17, v15
	v_and_b32_e32 v17, 0xffff, v18
	v_cndmask_b32_e64 v4, 0, 1, s0
	v_cmp_lt_i32_e64 s0, 5, v13
	v_cmp_eq_u32_e64 s1, 3, v13
	v_sub_nc_u32_e32 v18, 0x3f1, v21
	v_lshl_or_b32 v13, v15, 16, v17
	v_lshrrev_b32_e32 v15, 2, v19
	v_and_or_b32 v4, 0xffe, v20, v4
	s_or_b32 s0, s1, s0
	v_med3_i32 v18, v18, 0, 13
	v_add_co_ci_u32_e64 v15, s0, 0, v15, s0
	v_or_b32_e32 v17, 0x1000, v4
	v_cmp_ne_u32_e64 s0, 0, v8
	v_and_or_b32 v10, 0x1ff, v11, v10
	v_lshrrev_b32_e32 v20, 8, v11
	v_mul_f64 v[0:1], v[0:1], s[4:5]
	v_lshrrev_b32_e32 v19, v18, v17
	v_cndmask_b32_e64 v8, 0, 1, s0
	v_cmp_gt_i32_e64 s0, 31, v14
	v_bfe_u32 v22, v11, 20, 11
	v_lshrrev_b32_e32 v11, 16, v11
	v_lshlrev_b32_e32 v18, v18, v19
	v_lshl_or_b32 v8, v8, 9, 0x7c00
	v_cndmask_b32_e64 v15, 0x7c00, v15, s0
	v_cmp_ne_u32_e64 s0, 0, v10
	v_cndmask_b32_e64 v10, 0, 1, s0
	v_cmp_ne_u32_e64 s0, v18, v17
	v_add_nc_u32_e32 v18, 0xfffffc10, v21
	v_and_or_b32 v10, 0xffe, v20, v10
	v_cndmask_b32_e64 v17, 0, 1, s0
	v_sub_nc_u32_e32 v20, 0x3f1, v22
	v_cmp_eq_u32_e64 s0, 0x40f, v14
	v_and_or_b32 v0, 0x1ff, v1, v0
	v_bfe_u32 v21, v1, 20, 11
	v_or_b32_e32 v14, v19, v17
	v_or_b32_e32 v17, 0x1000, v10
	v_cndmask_b32_e64 v8, v15, v8, s0
	v_lshl_or_b32 v15, v18, 12, v4
	v_med3_i32 v19, v20, 0, 13
	v_cmp_gt_i32_e64 s0, 1, v18
	v_lshrrev_b32_e32 v20, 8, v1
	v_and_or_b32 v8, 0x8000, v9, v8
	v_sub_nc_u32_e32 v9, 0x3f1, v21
	v_lshrrev_b32_e32 v1, 16, v1
	v_cndmask_b32_e64 v14, v15, v14, s0
	v_lshrrev_b32_e32 v15, v19, v17
	v_cmp_ne_u32_e64 s0, 0, v0
	v_med3_i32 v9, v9, 0, 13
	v_and_b32_e32 v8, 0xffff, v8
	v_and_b32_e32 v23, 7, v14
	v_lshlrev_b32_e32 v19, v19, v15
	v_cndmask_b32_e64 v0, 0, 1, s0
	v_lshrrev_b32_e32 v14, 2, v14
	v_cmp_lt_i32_e64 s0, 5, v23
	v_cmp_ne_u32_e64 s1, v19, v17
	v_and_or_b32 v0, 0xffe, v20, v0
	v_add_nc_u32_e32 v20, 0xfffffc10, v22
	v_cndmask_b32_e64 v17, 0, 1, s1
	v_cmp_eq_u32_e64 s1, 3, v23
	v_or_b32_e32 v19, 0x1000, v0
	v_lshl_or_b32 v22, v20, 12, v10
	v_or_b32_e32 v15, v15, v17
	s_or_b32 s0, s1, s0
	v_lshrrev_b32_e32 v17, v9, v19
	v_add_co_ci_u32_e64 v14, s0, 0, v14, s0
	v_cmp_gt_i32_e64 s0, 1, v20
	v_lshlrev_b32_e32 v9, v9, v17
	v_cndmask_b32_e64 v15, v22, v15, s0
	v_cmp_ne_u32_e64 s0, 0, v4
	v_cndmask_b32_e64 v4, 0, 1, s0
	v_cmp_ne_u32_e64 s0, v9, v19
	v_add_nc_u32_e32 v19, 0xfffffc10, v21
	v_and_b32_e32 v21, 7, v15
	v_lshl_or_b32 v4, v4, 9, 0x7c00
	v_cndmask_b32_e64 v9, 0, 1, s0
	v_cmp_gt_i32_e64 s0, 31, v18
	v_cmp_gt_i32_e64 s2, 1, v19
	v_cmp_eq_u32_e64 s1, 3, v21
	v_or_b32_e32 v9, v17, v9
	v_lshl_or_b32 v17, v19, 12, v0
	v_cndmask_b32_e64 v14, 0x7c00, v14, s0
	v_cmp_lt_i32_e64 s0, 5, v21
	v_cndmask_b32_e64 v9, v17, v9, s2
	v_cmp_eq_u32_e64 s2, 0x40f, v18
	s_or_b32 s0, s1, s0
	v_cndmask_b32_e64 v4, v14, v4, s2
	v_lshrrev_b32_e32 v14, 2, v15
	v_and_b32_e32 v15, 7, v9
	v_lshrrev_b32_e32 v9, 2, v9
	v_cmp_gt_i32_e64 s2, 31, v20
	v_add_co_ci_u32_e64 v14, s0, 0, v14, s0
	v_cmp_ne_u32_e64 s0, 0, v10
	v_cmp_eq_u32_e64 s1, 3, v15
	v_cndmask_b32_e64 v14, 0x7c00, v14, s2
	v_cndmask_b32_e64 v10, 0, 1, s0
	v_cmp_lt_i32_e64 s0, 5, v15
	v_lshl_or_b32 v10, v10, 9, 0x7c00
	s_or_b32 s0, s1, s0
	v_add_co_ci_u32_e64 v9, s0, 0, v9, s0
	v_cmp_ne_u32_e64 s0, 0, v0
	v_cndmask_b32_e64 v0, 0, 1, s0
	v_cmp_eq_u32_e64 s0, 0x40f, v20
	v_lshl_or_b32 v0, v0, 9, 0x7c00
	v_cndmask_b32_e64 v10, v14, v10, s0
	v_cmp_gt_i32_e64 s0, 31, v19
	v_and_or_b32 v14, 0x8000, v5, v4
	v_and_or_b32 v10, 0x8000, v11, v10
	v_cndmask_b32_e64 v9, 0x7c00, v9, s0
	v_cmp_eq_u32_e64 s0, 0x40f, v19
	v_lshl_or_b32 v11, v14, 16, v8
	v_cndmask_b32_e64 v0, v9, v0, s0
	v_add_co_u32 v4, s0, v2, s6
	v_add_co_ci_u32_e64 v5, s0, s7, v3, s0
	v_and_or_b32 v0, 0x8000, v1, v0
	v_and_b32_e32 v1, 0xffff, v10
	v_add_co_u32 v8, s0, v4, s6
	v_add_co_ci_u32_e64 v9, s0, s7, v5, s0
	v_lshl_or_b32 v10, v0, 16, v1
	v_add_co_u32 v0, s0, v8, s6
	v_add_co_ci_u32_e64 v1, s0, s7, v9, s0
	global_store_dword v[6:7], v16, off
	global_store_dword v[2:3], v12, off
	;; [unrolled: 1-line block ×5, first 2 shown]
	s_and_b32 exec_lo, exec_lo, vcc_lo
	s_cbranch_execz .LBB0_23
; %bb.22:
	global_load_dword v4, v[28:29], off offset:440
	v_add_nc_u32_e32 v2, 0x100, v63
	v_mad_u64_u32 v[0:1], null, 0xffffea48, s8, v[0:1]
	ds_read2_b32 v[2:3], v2 offset0:46 offset1:196
	s_waitcnt lgkmcnt(0)
	v_lshrrev_b32_e32 v5, 16, v2
	s_waitcnt vmcnt(0)
	v_mul_f16_sdwa v6, v5, v4 dst_sel:DWORD dst_unused:UNUSED_PAD src0_sel:DWORD src1_sel:WORD_1
	v_mul_f16_sdwa v7, v2, v4 dst_sel:DWORD dst_unused:UNUSED_PAD src0_sel:DWORD src1_sel:WORD_1
	v_fmac_f16_e32 v6, v2, v4
	v_fma_f16 v2, v4, v5, -v7
	v_cvt_f32_f16_e32 v4, v6
	v_cvt_f32_f16_e32 v2, v2
	v_cvt_f64_f32_e32 v[4:5], v4
	v_cvt_f64_f32_e32 v[6:7], v2
	v_mul_f64 v[4:5], v[4:5], s[4:5]
	v_mul_f64 v[6:7], v[6:7], s[4:5]
	v_and_or_b32 v2, 0x1ff, v5, v4
	v_and_or_b32 v6, 0x1ff, v7, v6
	v_lshrrev_b32_e32 v4, 8, v5
	v_bfe_u32 v8, v5, 20, 11
	v_lshrrev_b32_e32 v9, 8, v7
	v_cmp_ne_u32_e32 vcc_lo, 0, v2
	v_bfe_u32 v10, v7, 20, 11
	v_lshrrev_b32_e32 v5, 16, v5
	v_sub_nc_u32_e32 v11, 0x3f1, v8
	v_add_nc_u32_e32 v8, 0xfffffc10, v8
	v_cndmask_b32_e64 v2, 0, 1, vcc_lo
	v_cmp_ne_u32_e32 vcc_lo, 0, v6
	v_lshrrev_b32_e32 v7, 16, v7
	v_and_or_b32 v2, 0xffe, v4, v2
	v_cndmask_b32_e64 v6, 0, 1, vcc_lo
	v_sub_nc_u32_e32 v4, 0x3f1, v10
	v_add_nc_u32_e32 v10, 0xfffffc10, v10
	v_and_or_b32 v6, 0xffe, v9, v6
	v_med3_i32 v9, v11, 0, 13
	v_or_b32_e32 v11, 0x1000, v2
	v_med3_i32 v4, v4, 0, 13
	v_or_b32_e32 v12, 0x1000, v6
	v_lshrrev_b32_e32 v13, v9, v11
	v_lshrrev_b32_e32 v14, v4, v12
	v_lshlrev_b32_e32 v9, v9, v13
	v_lshlrev_b32_e32 v4, v4, v14
	v_cmp_ne_u32_e32 vcc_lo, v9, v11
	v_lshl_or_b32 v11, v8, 12, v2
	v_cndmask_b32_e64 v9, 0, 1, vcc_lo
	v_cmp_ne_u32_e32 vcc_lo, v4, v12
	v_lshl_or_b32 v12, v10, 12, v6
	v_or_b32_e32 v9, v13, v9
	v_cndmask_b32_e64 v4, 0, 1, vcc_lo
	v_cmp_gt_i32_e32 vcc_lo, 1, v8
	v_or_b32_e32 v4, v14, v4
	v_cndmask_b32_e32 v9, v11, v9, vcc_lo
	v_cmp_gt_i32_e32 vcc_lo, 1, v10
	v_and_b32_e32 v11, 7, v9
	v_cndmask_b32_e32 v4, v12, v4, vcc_lo
	v_cmp_ne_u32_e32 vcc_lo, 0, v2
	v_lshrrev_b32_e32 v9, 2, v9
	v_cmp_eq_u32_e64 s0, 3, v11
	v_and_b32_e32 v12, 7, v4
	v_cndmask_b32_e64 v2, 0, 1, vcc_lo
	v_cmp_ne_u32_e32 vcc_lo, 0, v6
	v_lshrrev_b32_e32 v4, 2, v4
	v_cmp_lt_i32_e64 s1, 5, v12
	v_cmp_eq_u32_e64 s2, 3, v12
	v_cndmask_b32_e64 v6, 0, 1, vcc_lo
	v_cmp_lt_i32_e32 vcc_lo, 5, v11
	v_lshl_or_b32 v2, v2, 9, 0x7c00
	v_lshl_or_b32 v6, v6, 9, 0x7c00
	s_or_b32 vcc_lo, s0, vcc_lo
	s_mul_i32 s0, s9, 0xffffea48
	v_add_co_ci_u32_e32 v9, vcc_lo, 0, v9, vcc_lo
	s_or_b32 vcc_lo, s2, s1
	s_sub_i32 s0, s0, s8
	v_add_co_ci_u32_e32 v4, vcc_lo, 0, v4, vcc_lo
	v_cmp_gt_i32_e32 vcc_lo, 31, v8
	v_add_nc_u32_e32 v1, s0, v1
	v_cndmask_b32_e32 v9, 0x7c00, v9, vcc_lo
	v_cmp_gt_i32_e32 vcc_lo, 31, v10
	v_cndmask_b32_e32 v4, 0x7c00, v4, vcc_lo
	v_cmp_eq_u32_e32 vcc_lo, 0x40f, v8
	v_cndmask_b32_e32 v2, v9, v2, vcc_lo
	v_cmp_eq_u32_e32 vcc_lo, 0x40f, v10
	v_and_or_b32 v2, 0x8000, v5, v2
	v_cndmask_b32_e32 v4, v4, v6, vcc_lo
	v_and_b32_e32 v2, 0xffff, v2
	v_and_or_b32 v4, 0x8000, v7, v4
	v_lshl_or_b32 v2, v4, 16, v2
	v_lshrrev_b32_e32 v4, 16, v3
	global_store_dword v[0:1], v2, off
	global_load_dword v2, v[28:29], off offset:1040
	s_waitcnt vmcnt(0)
	v_mul_f16_sdwa v5, v4, v2 dst_sel:DWORD dst_unused:UNUSED_PAD src0_sel:DWORD src1_sel:WORD_1
	v_mul_f16_sdwa v6, v3, v2 dst_sel:DWORD dst_unused:UNUSED_PAD src0_sel:DWORD src1_sel:WORD_1
	v_fmac_f16_e32 v5, v3, v2
	v_fma_f16 v2, v2, v4, -v6
	v_cvt_f32_f16_e32 v3, v5
	v_cvt_f32_f16_e32 v4, v2
	v_cvt_f64_f32_e32 v[2:3], v3
	v_cvt_f64_f32_e32 v[4:5], v4
	v_mul_f64 v[2:3], v[2:3], s[4:5]
	v_mul_f64 v[4:5], v[4:5], s[4:5]
	v_and_or_b32 v2, 0x1ff, v3, v2
	v_and_or_b32 v4, 0x1ff, v5, v4
	v_lshrrev_b32_e32 v6, 8, v3
	v_bfe_u32 v7, v3, 20, 11
	v_lshrrev_b32_e32 v8, 8, v5
	v_cmp_ne_u32_e32 vcc_lo, 0, v2
	v_bfe_u32 v9, v5, 20, 11
	v_lshrrev_b32_e32 v3, 16, v3
	v_sub_nc_u32_e32 v10, 0x3f1, v7
	v_add_nc_u32_e32 v7, 0xfffffc10, v7
	v_cndmask_b32_e64 v2, 0, 1, vcc_lo
	v_cmp_ne_u32_e32 vcc_lo, 0, v4
	v_lshrrev_b32_e32 v5, 16, v5
	v_and_or_b32 v2, 0xffe, v6, v2
	v_cndmask_b32_e64 v4, 0, 1, vcc_lo
	v_sub_nc_u32_e32 v6, 0x3f1, v9
	v_add_nc_u32_e32 v9, 0xfffffc10, v9
	v_and_or_b32 v4, 0xffe, v8, v4
	v_med3_i32 v8, v10, 0, 13
	v_or_b32_e32 v10, 0x1000, v2
	v_med3_i32 v6, v6, 0, 13
	v_or_b32_e32 v11, 0x1000, v4
	v_lshrrev_b32_e32 v12, v8, v10
	v_lshrrev_b32_e32 v13, v6, v11
	v_lshlrev_b32_e32 v8, v8, v12
	v_lshlrev_b32_e32 v6, v6, v13
	v_cmp_ne_u32_e32 vcc_lo, v8, v10
	v_lshl_or_b32 v10, v7, 12, v2
	v_cndmask_b32_e64 v8, 0, 1, vcc_lo
	v_cmp_ne_u32_e32 vcc_lo, v6, v11
	v_lshl_or_b32 v11, v9, 12, v4
	v_or_b32_e32 v8, v12, v8
	v_cndmask_b32_e64 v6, 0, 1, vcc_lo
	v_cmp_gt_i32_e32 vcc_lo, 1, v7
	v_or_b32_e32 v6, v13, v6
	v_cndmask_b32_e32 v8, v10, v8, vcc_lo
	v_cmp_gt_i32_e32 vcc_lo, 1, v9
	v_and_b32_e32 v10, 7, v8
	v_cndmask_b32_e32 v6, v11, v6, vcc_lo
	v_cmp_ne_u32_e32 vcc_lo, 0, v2
	v_lshrrev_b32_e32 v8, 2, v8
	v_cmp_eq_u32_e64 s0, 3, v10
	v_and_b32_e32 v11, 7, v6
	v_cndmask_b32_e64 v2, 0, 1, vcc_lo
	v_cmp_ne_u32_e32 vcc_lo, 0, v4
	v_lshrrev_b32_e32 v6, 2, v6
	v_cmp_lt_i32_e64 s1, 5, v11
	v_cmp_eq_u32_e64 s2, 3, v11
	v_cndmask_b32_e64 v4, 0, 1, vcc_lo
	v_cmp_lt_i32_e32 vcc_lo, 5, v10
	v_lshl_or_b32 v2, v2, 9, 0x7c00
	v_lshl_or_b32 v4, v4, 9, 0x7c00
	s_or_b32 vcc_lo, s0, vcc_lo
	v_add_co_ci_u32_e32 v8, vcc_lo, 0, v8, vcc_lo
	s_or_b32 vcc_lo, s2, s1
	v_add_co_ci_u32_e32 v6, vcc_lo, 0, v6, vcc_lo
	v_cmp_gt_i32_e32 vcc_lo, 31, v7
	v_cndmask_b32_e32 v8, 0x7c00, v8, vcc_lo
	v_cmp_gt_i32_e32 vcc_lo, 31, v9
	v_cndmask_b32_e32 v6, 0x7c00, v6, vcc_lo
	v_cmp_eq_u32_e32 vcc_lo, 0x40f, v7
	v_cndmask_b32_e32 v2, v8, v2, vcc_lo
	v_cmp_eq_u32_e32 vcc_lo, 0x40f, v9
	v_and_or_b32 v2, 0x8000, v3, v2
	v_cndmask_b32_e32 v4, v6, v4, vcc_lo
	v_add_co_u32 v0, vcc_lo, v0, s6
	v_add_co_ci_u32_e32 v1, vcc_lo, s7, v1, vcc_lo
	v_and_or_b32 v3, 0x8000, v5, v4
	v_and_b32_e32 v2, 0xffff, v2
	v_lshl_or_b32 v2, v3, 16, v2
	global_store_dword v[0:1], v2, off
	global_load_dword v4, v[28:29], off offset:1640
	ds_read2_b32 v[2:3], v35 offset0:26 offset1:176
	s_waitcnt lgkmcnt(0)
	v_lshrrev_b32_e32 v5, 16, v2
	s_waitcnt vmcnt(0)
	v_mul_f16_sdwa v6, v5, v4 dst_sel:DWORD dst_unused:UNUSED_PAD src0_sel:DWORD src1_sel:WORD_1
	v_mul_f16_sdwa v7, v2, v4 dst_sel:DWORD dst_unused:UNUSED_PAD src0_sel:DWORD src1_sel:WORD_1
	v_fmac_f16_e32 v6, v2, v4
	v_fma_f16 v2, v4, v5, -v7
	v_cvt_f32_f16_e32 v4, v6
	v_cvt_f32_f16_e32 v2, v2
	v_cvt_f64_f32_e32 v[4:5], v4
	v_cvt_f64_f32_e32 v[6:7], v2
	v_mul_f64 v[4:5], v[4:5], s[4:5]
	v_mul_f64 v[6:7], v[6:7], s[4:5]
	v_and_or_b32 v2, 0x1ff, v5, v4
	v_and_or_b32 v6, 0x1ff, v7, v6
	v_lshrrev_b32_e32 v4, 8, v5
	v_bfe_u32 v8, v5, 20, 11
	v_lshrrev_b32_e32 v9, 8, v7
	v_cmp_ne_u32_e32 vcc_lo, 0, v2
	v_bfe_u32 v10, v7, 20, 11
	v_lshrrev_b32_e32 v5, 16, v5
	v_sub_nc_u32_e32 v11, 0x3f1, v8
	v_add_nc_u32_e32 v8, 0xfffffc10, v8
	v_cndmask_b32_e64 v2, 0, 1, vcc_lo
	v_cmp_ne_u32_e32 vcc_lo, 0, v6
	v_lshrrev_b32_e32 v7, 16, v7
	v_and_or_b32 v2, 0xffe, v4, v2
	v_cndmask_b32_e64 v6, 0, 1, vcc_lo
	v_sub_nc_u32_e32 v4, 0x3f1, v10
	v_add_nc_u32_e32 v10, 0xfffffc10, v10
	v_and_or_b32 v6, 0xffe, v9, v6
	v_med3_i32 v9, v11, 0, 13
	v_or_b32_e32 v11, 0x1000, v2
	v_med3_i32 v4, v4, 0, 13
	v_or_b32_e32 v12, 0x1000, v6
	v_lshrrev_b32_e32 v13, v9, v11
	v_lshrrev_b32_e32 v14, v4, v12
	v_lshlrev_b32_e32 v9, v9, v13
	v_lshlrev_b32_e32 v4, v4, v14
	v_cmp_ne_u32_e32 vcc_lo, v9, v11
	v_lshl_or_b32 v11, v8, 12, v2
	v_cndmask_b32_e64 v9, 0, 1, vcc_lo
	v_cmp_ne_u32_e32 vcc_lo, v4, v12
	v_lshl_or_b32 v12, v10, 12, v6
	v_or_b32_e32 v9, v13, v9
	v_cndmask_b32_e64 v4, 0, 1, vcc_lo
	v_cmp_gt_i32_e32 vcc_lo, 1, v8
	v_or_b32_e32 v4, v14, v4
	v_cndmask_b32_e32 v9, v11, v9, vcc_lo
	v_cmp_gt_i32_e32 vcc_lo, 1, v10
	v_and_b32_e32 v11, 7, v9
	v_cndmask_b32_e32 v4, v12, v4, vcc_lo
	v_cmp_ne_u32_e32 vcc_lo, 0, v2
	v_lshrrev_b32_e32 v9, 2, v9
	v_cmp_eq_u32_e64 s0, 3, v11
	v_and_b32_e32 v12, 7, v4
	v_cndmask_b32_e64 v2, 0, 1, vcc_lo
	v_cmp_ne_u32_e32 vcc_lo, 0, v6
	v_lshrrev_b32_e32 v4, 2, v4
	v_cmp_lt_i32_e64 s1, 5, v12
	v_cmp_eq_u32_e64 s2, 3, v12
	v_cndmask_b32_e64 v6, 0, 1, vcc_lo
	v_cmp_lt_i32_e32 vcc_lo, 5, v11
	v_lshl_or_b32 v2, v2, 9, 0x7c00
	v_lshl_or_b32 v6, v6, 9, 0x7c00
	s_or_b32 vcc_lo, s0, vcc_lo
	v_add_co_ci_u32_e32 v9, vcc_lo, 0, v9, vcc_lo
	s_or_b32 vcc_lo, s2, s1
	v_add_co_ci_u32_e32 v4, vcc_lo, 0, v4, vcc_lo
	v_cmp_gt_i32_e32 vcc_lo, 31, v8
	v_cndmask_b32_e32 v9, 0x7c00, v9, vcc_lo
	v_cmp_gt_i32_e32 vcc_lo, 31, v10
	v_cndmask_b32_e32 v4, 0x7c00, v4, vcc_lo
	v_cmp_eq_u32_e32 vcc_lo, 0x40f, v8
	v_cndmask_b32_e32 v2, v9, v2, vcc_lo
	v_cmp_eq_u32_e32 vcc_lo, 0x40f, v10
	v_and_or_b32 v2, 0x8000, v5, v2
	v_cndmask_b32_e32 v4, v4, v6, vcc_lo
	v_add_co_u32 v0, vcc_lo, v0, s6
	v_add_co_ci_u32_e32 v1, vcc_lo, s7, v1, vcc_lo
	v_and_or_b32 v4, 0x8000, v7, v4
	v_and_b32_e32 v2, 0xffff, v2
	v_lshl_or_b32 v2, v4, 16, v2
	v_lshrrev_b32_e32 v4, 16, v3
	global_store_dword v[0:1], v2, off
	global_load_dword v2, v[26:27], off offset:192
	s_waitcnt vmcnt(0)
	v_mul_f16_sdwa v5, v4, v2 dst_sel:DWORD dst_unused:UNUSED_PAD src0_sel:DWORD src1_sel:WORD_1
	v_mul_f16_sdwa v6, v3, v2 dst_sel:DWORD dst_unused:UNUSED_PAD src0_sel:DWORD src1_sel:WORD_1
	v_fmac_f16_e32 v5, v3, v2
	v_fma_f16 v2, v2, v4, -v6
	v_cvt_f32_f16_e32 v3, v5
	v_cvt_f32_f16_e32 v4, v2
	v_cvt_f64_f32_e32 v[2:3], v3
	v_cvt_f64_f32_e32 v[4:5], v4
	v_mul_f64 v[2:3], v[2:3], s[4:5]
	v_mul_f64 v[4:5], v[4:5], s[4:5]
	v_and_or_b32 v2, 0x1ff, v3, v2
	v_and_or_b32 v4, 0x1ff, v5, v4
	v_lshrrev_b32_e32 v6, 8, v3
	v_bfe_u32 v7, v3, 20, 11
	v_lshrrev_b32_e32 v8, 8, v5
	v_cmp_ne_u32_e32 vcc_lo, 0, v2
	v_bfe_u32 v9, v5, 20, 11
	v_lshrrev_b32_e32 v3, 16, v3
	v_sub_nc_u32_e32 v10, 0x3f1, v7
	v_add_nc_u32_e32 v7, 0xfffffc10, v7
	v_cndmask_b32_e64 v2, 0, 1, vcc_lo
	v_cmp_ne_u32_e32 vcc_lo, 0, v4
	v_lshrrev_b32_e32 v5, 16, v5
	v_and_or_b32 v2, 0xffe, v6, v2
	v_cndmask_b32_e64 v4, 0, 1, vcc_lo
	v_sub_nc_u32_e32 v6, 0x3f1, v9
	v_add_nc_u32_e32 v9, 0xfffffc10, v9
	v_and_or_b32 v4, 0xffe, v8, v4
	v_med3_i32 v8, v10, 0, 13
	v_or_b32_e32 v10, 0x1000, v2
	v_med3_i32 v6, v6, 0, 13
	v_or_b32_e32 v11, 0x1000, v4
	v_lshrrev_b32_e32 v12, v8, v10
	v_lshrrev_b32_e32 v13, v6, v11
	v_lshlrev_b32_e32 v8, v8, v12
	v_lshlrev_b32_e32 v6, v6, v13
	v_cmp_ne_u32_e32 vcc_lo, v8, v10
	v_lshl_or_b32 v10, v7, 12, v2
	v_cndmask_b32_e64 v8, 0, 1, vcc_lo
	v_cmp_ne_u32_e32 vcc_lo, v6, v11
	v_lshl_or_b32 v11, v9, 12, v4
	v_or_b32_e32 v8, v12, v8
	v_cndmask_b32_e64 v6, 0, 1, vcc_lo
	v_cmp_gt_i32_e32 vcc_lo, 1, v7
	v_or_b32_e32 v6, v13, v6
	v_cndmask_b32_e32 v8, v10, v8, vcc_lo
	v_cmp_gt_i32_e32 vcc_lo, 1, v9
	v_and_b32_e32 v10, 7, v8
	v_cndmask_b32_e32 v6, v11, v6, vcc_lo
	v_cmp_ne_u32_e32 vcc_lo, 0, v2
	v_lshrrev_b32_e32 v8, 2, v8
	v_cmp_eq_u32_e64 s0, 3, v10
	v_and_b32_e32 v11, 7, v6
	v_cndmask_b32_e64 v2, 0, 1, vcc_lo
	v_cmp_ne_u32_e32 vcc_lo, 0, v4
	v_lshrrev_b32_e32 v6, 2, v6
	v_cmp_lt_i32_e64 s1, 5, v11
	v_cmp_eq_u32_e64 s2, 3, v11
	v_cndmask_b32_e64 v4, 0, 1, vcc_lo
	v_cmp_lt_i32_e32 vcc_lo, 5, v10
	v_lshl_or_b32 v2, v2, 9, 0x7c00
	v_lshl_or_b32 v4, v4, 9, 0x7c00
	s_or_b32 vcc_lo, s0, vcc_lo
	v_add_co_ci_u32_e32 v8, vcc_lo, 0, v8, vcc_lo
	s_or_b32 vcc_lo, s2, s1
	v_add_co_ci_u32_e32 v6, vcc_lo, 0, v6, vcc_lo
	v_cmp_gt_i32_e32 vcc_lo, 31, v7
	v_cndmask_b32_e32 v8, 0x7c00, v8, vcc_lo
	v_cmp_gt_i32_e32 vcc_lo, 31, v9
	v_cndmask_b32_e32 v6, 0x7c00, v6, vcc_lo
	v_cmp_eq_u32_e32 vcc_lo, 0x40f, v7
	v_cndmask_b32_e32 v2, v8, v2, vcc_lo
	v_cmp_eq_u32_e32 vcc_lo, 0x40f, v9
	v_and_or_b32 v2, 0x8000, v3, v2
	v_cndmask_b32_e32 v4, v6, v4, vcc_lo
	v_add_co_u32 v0, vcc_lo, v0, s6
	v_add_co_ci_u32_e32 v1, vcc_lo, s7, v1, vcc_lo
	v_and_or_b32 v3, 0x8000, v5, v4
	v_and_b32_e32 v2, 0xffff, v2
	v_lshl_or_b32 v2, v3, 16, v2
	global_store_dword v[0:1], v2, off
	global_load_dword v4, v[26:27], off offset:792
	ds_read2_b32 v[2:3], v34 offset0:70 offset1:220
	s_waitcnt lgkmcnt(0)
	v_lshrrev_b32_e32 v5, 16, v2
	s_waitcnt vmcnt(0)
	v_mul_f16_sdwa v6, v5, v4 dst_sel:DWORD dst_unused:UNUSED_PAD src0_sel:DWORD src1_sel:WORD_1
	v_mul_f16_sdwa v7, v2, v4 dst_sel:DWORD dst_unused:UNUSED_PAD src0_sel:DWORD src1_sel:WORD_1
	v_fmac_f16_e32 v6, v2, v4
	v_fma_f16 v2, v4, v5, -v7
	v_cvt_f32_f16_e32 v4, v6
	v_cvt_f32_f16_e32 v2, v2
	v_cvt_f64_f32_e32 v[4:5], v4
	v_cvt_f64_f32_e32 v[6:7], v2
	v_mul_f64 v[4:5], v[4:5], s[4:5]
	v_mul_f64 v[6:7], v[6:7], s[4:5]
	v_and_or_b32 v2, 0x1ff, v5, v4
	v_and_or_b32 v6, 0x1ff, v7, v6
	v_lshrrev_b32_e32 v4, 8, v5
	v_bfe_u32 v8, v5, 20, 11
	v_lshrrev_b32_e32 v9, 8, v7
	v_cmp_ne_u32_e32 vcc_lo, 0, v2
	v_bfe_u32 v10, v7, 20, 11
	v_lshrrev_b32_e32 v5, 16, v5
	v_sub_nc_u32_e32 v11, 0x3f1, v8
	v_add_nc_u32_e32 v8, 0xfffffc10, v8
	v_cndmask_b32_e64 v2, 0, 1, vcc_lo
	v_cmp_ne_u32_e32 vcc_lo, 0, v6
	v_lshrrev_b32_e32 v7, 16, v7
	v_and_or_b32 v2, 0xffe, v4, v2
	v_cndmask_b32_e64 v6, 0, 1, vcc_lo
	v_sub_nc_u32_e32 v4, 0x3f1, v10
	v_add_nc_u32_e32 v10, 0xfffffc10, v10
	v_and_or_b32 v6, 0xffe, v9, v6
	v_med3_i32 v9, v11, 0, 13
	v_or_b32_e32 v11, 0x1000, v2
	v_med3_i32 v4, v4, 0, 13
	v_or_b32_e32 v12, 0x1000, v6
	v_lshrrev_b32_e32 v13, v9, v11
	v_lshrrev_b32_e32 v14, v4, v12
	v_lshlrev_b32_e32 v9, v9, v13
	v_lshlrev_b32_e32 v4, v4, v14
	v_cmp_ne_u32_e32 vcc_lo, v9, v11
	v_lshl_or_b32 v11, v8, 12, v2
	v_cndmask_b32_e64 v9, 0, 1, vcc_lo
	v_cmp_ne_u32_e32 vcc_lo, v4, v12
	v_lshl_or_b32 v12, v10, 12, v6
	v_or_b32_e32 v9, v13, v9
	v_cndmask_b32_e64 v4, 0, 1, vcc_lo
	v_cmp_gt_i32_e32 vcc_lo, 1, v8
	v_or_b32_e32 v4, v14, v4
	v_cndmask_b32_e32 v9, v11, v9, vcc_lo
	v_cmp_gt_i32_e32 vcc_lo, 1, v10
	v_and_b32_e32 v11, 7, v9
	v_cndmask_b32_e32 v4, v12, v4, vcc_lo
	v_cmp_ne_u32_e32 vcc_lo, 0, v2
	v_lshrrev_b32_e32 v9, 2, v9
	v_cmp_eq_u32_e64 s0, 3, v11
	v_and_b32_e32 v12, 7, v4
	v_cndmask_b32_e64 v2, 0, 1, vcc_lo
	v_cmp_ne_u32_e32 vcc_lo, 0, v6
	v_lshrrev_b32_e32 v4, 2, v4
	v_cmp_lt_i32_e64 s1, 5, v12
	v_cmp_eq_u32_e64 s2, 3, v12
	v_cndmask_b32_e64 v6, 0, 1, vcc_lo
	v_cmp_lt_i32_e32 vcc_lo, 5, v11
	v_lshl_or_b32 v2, v2, 9, 0x7c00
	v_lshl_or_b32 v6, v6, 9, 0x7c00
	s_or_b32 vcc_lo, s0, vcc_lo
	v_add_co_ci_u32_e32 v9, vcc_lo, 0, v9, vcc_lo
	s_or_b32 vcc_lo, s2, s1
	v_add_co_ci_u32_e32 v4, vcc_lo, 0, v4, vcc_lo
	v_cmp_gt_i32_e32 vcc_lo, 31, v8
	v_cndmask_b32_e32 v9, 0x7c00, v9, vcc_lo
	v_cmp_gt_i32_e32 vcc_lo, 31, v10
	v_cndmask_b32_e32 v4, 0x7c00, v4, vcc_lo
	v_cmp_eq_u32_e32 vcc_lo, 0x40f, v8
	v_cndmask_b32_e32 v2, v9, v2, vcc_lo
	v_cmp_eq_u32_e32 vcc_lo, 0x40f, v10
	v_and_or_b32 v2, 0x8000, v5, v2
	v_cndmask_b32_e32 v4, v4, v6, vcc_lo
	v_add_co_u32 v0, vcc_lo, v0, s6
	v_add_co_ci_u32_e32 v1, vcc_lo, s7, v1, vcc_lo
	v_and_or_b32 v4, 0x8000, v7, v4
	v_and_b32_e32 v2, 0xffff, v2
	v_lshl_or_b32 v2, v4, 16, v2
	v_lshrrev_b32_e32 v4, 16, v3
	global_store_dword v[0:1], v2, off
	global_load_dword v2, v[26:27], off offset:1392
	s_waitcnt vmcnt(0)
	v_mul_f16_sdwa v5, v4, v2 dst_sel:DWORD dst_unused:UNUSED_PAD src0_sel:DWORD src1_sel:WORD_1
	v_mul_f16_sdwa v6, v3, v2 dst_sel:DWORD dst_unused:UNUSED_PAD src0_sel:DWORD src1_sel:WORD_1
	v_fmac_f16_e32 v5, v3, v2
	v_fma_f16 v2, v2, v4, -v6
	v_cvt_f32_f16_e32 v3, v5
	v_cvt_f32_f16_e32 v4, v2
	v_cvt_f64_f32_e32 v[2:3], v3
	v_cvt_f64_f32_e32 v[4:5], v4
	v_mul_f64 v[2:3], v[2:3], s[4:5]
	v_mul_f64 v[4:5], v[4:5], s[4:5]
	v_and_or_b32 v2, 0x1ff, v3, v2
	v_and_or_b32 v4, 0x1ff, v5, v4
	v_lshrrev_b32_e32 v6, 8, v3
	v_bfe_u32 v7, v3, 20, 11
	v_lshrrev_b32_e32 v8, 8, v5
	v_cmp_ne_u32_e32 vcc_lo, 0, v2
	v_bfe_u32 v9, v5, 20, 11
	v_lshrrev_b32_e32 v3, 16, v3
	v_sub_nc_u32_e32 v10, 0x3f1, v7
	v_add_nc_u32_e32 v7, 0xfffffc10, v7
	v_cndmask_b32_e64 v2, 0, 1, vcc_lo
	v_cmp_ne_u32_e32 vcc_lo, 0, v4
	v_lshrrev_b32_e32 v5, 16, v5
	v_and_or_b32 v2, 0xffe, v6, v2
	v_cndmask_b32_e64 v4, 0, 1, vcc_lo
	v_sub_nc_u32_e32 v6, 0x3f1, v9
	v_add_nc_u32_e32 v9, 0xfffffc10, v9
	v_and_or_b32 v4, 0xffe, v8, v4
	v_med3_i32 v8, v10, 0, 13
	v_or_b32_e32 v10, 0x1000, v2
	v_med3_i32 v6, v6, 0, 13
	v_or_b32_e32 v11, 0x1000, v4
	v_lshrrev_b32_e32 v12, v8, v10
	v_lshrrev_b32_e32 v13, v6, v11
	v_lshlrev_b32_e32 v8, v8, v12
	v_lshlrev_b32_e32 v6, v6, v13
	v_cmp_ne_u32_e32 vcc_lo, v8, v10
	v_lshl_or_b32 v10, v7, 12, v2
	v_cndmask_b32_e64 v8, 0, 1, vcc_lo
	v_cmp_ne_u32_e32 vcc_lo, v6, v11
	v_lshl_or_b32 v11, v9, 12, v4
	v_or_b32_e32 v8, v12, v8
	v_cndmask_b32_e64 v6, 0, 1, vcc_lo
	v_cmp_gt_i32_e32 vcc_lo, 1, v7
	v_or_b32_e32 v6, v13, v6
	v_cndmask_b32_e32 v8, v10, v8, vcc_lo
	v_cmp_gt_i32_e32 vcc_lo, 1, v9
	v_and_b32_e32 v10, 7, v8
	v_cndmask_b32_e32 v6, v11, v6, vcc_lo
	v_cmp_ne_u32_e32 vcc_lo, 0, v2
	v_lshrrev_b32_e32 v8, 2, v8
	v_cmp_eq_u32_e64 s0, 3, v10
	v_and_b32_e32 v11, 7, v6
	v_cndmask_b32_e64 v2, 0, 1, vcc_lo
	v_cmp_ne_u32_e32 vcc_lo, 0, v4
	v_lshrrev_b32_e32 v6, 2, v6
	v_cmp_lt_i32_e64 s1, 5, v11
	v_cmp_eq_u32_e64 s2, 3, v11
	v_cndmask_b32_e64 v4, 0, 1, vcc_lo
	v_cmp_lt_i32_e32 vcc_lo, 5, v10
	v_lshl_or_b32 v2, v2, 9, 0x7c00
	v_lshl_or_b32 v4, v4, 9, 0x7c00
	s_or_b32 vcc_lo, s0, vcc_lo
	v_add_co_ci_u32_e32 v8, vcc_lo, 0, v8, vcc_lo
	s_or_b32 vcc_lo, s2, s1
	v_add_co_ci_u32_e32 v6, vcc_lo, 0, v6, vcc_lo
	v_cmp_gt_i32_e32 vcc_lo, 31, v7
	v_cndmask_b32_e32 v8, 0x7c00, v8, vcc_lo
	v_cmp_gt_i32_e32 vcc_lo, 31, v9
	v_cndmask_b32_e32 v6, 0x7c00, v6, vcc_lo
	v_cmp_eq_u32_e32 vcc_lo, 0x40f, v7
	v_cndmask_b32_e32 v2, v8, v2, vcc_lo
	v_cmp_eq_u32_e32 vcc_lo, 0x40f, v9
	v_and_or_b32 v2, 0x8000, v3, v2
	v_cndmask_b32_e32 v4, v6, v4, vcc_lo
	v_add_co_u32 v0, vcc_lo, v0, s6
	v_add_co_ci_u32_e32 v1, vcc_lo, s7, v1, vcc_lo
	v_and_or_b32 v3, 0x8000, v5, v4
	v_and_b32_e32 v2, 0xffff, v2
	v_lshl_or_b32 v2, v3, 16, v2
	global_store_dword v[0:1], v2, off
	global_load_dword v4, v[26:27], off offset:1992
	v_add_nc_u32_e32 v2, 0xf00, v63
	ds_read2_b32 v[2:3], v2 offset0:50 offset1:200
	s_waitcnt lgkmcnt(0)
	v_lshrrev_b32_e32 v5, 16, v2
	s_waitcnt vmcnt(0)
	v_mul_f16_sdwa v6, v5, v4 dst_sel:DWORD dst_unused:UNUSED_PAD src0_sel:DWORD src1_sel:WORD_1
	v_mul_f16_sdwa v7, v2, v4 dst_sel:DWORD dst_unused:UNUSED_PAD src0_sel:DWORD src1_sel:WORD_1
	v_fmac_f16_e32 v6, v2, v4
	v_fma_f16 v2, v4, v5, -v7
	v_cvt_f32_f16_e32 v4, v6
	v_cvt_f32_f16_e32 v2, v2
	v_cvt_f64_f32_e32 v[4:5], v4
	v_cvt_f64_f32_e32 v[6:7], v2
	v_mul_f64 v[4:5], v[4:5], s[4:5]
	v_mul_f64 v[6:7], v[6:7], s[4:5]
	v_and_or_b32 v2, 0x1ff, v5, v4
	v_and_or_b32 v6, 0x1ff, v7, v6
	v_lshrrev_b32_e32 v4, 8, v5
	v_bfe_u32 v8, v5, 20, 11
	v_lshrrev_b32_e32 v9, 8, v7
	v_cmp_ne_u32_e32 vcc_lo, 0, v2
	v_bfe_u32 v10, v7, 20, 11
	v_lshrrev_b32_e32 v5, 16, v5
	v_sub_nc_u32_e32 v11, 0x3f1, v8
	v_add_nc_u32_e32 v8, 0xfffffc10, v8
	v_cndmask_b32_e64 v2, 0, 1, vcc_lo
	v_cmp_ne_u32_e32 vcc_lo, 0, v6
	v_lshrrev_b32_e32 v7, 16, v7
	v_and_or_b32 v2, 0xffe, v4, v2
	v_cndmask_b32_e64 v6, 0, 1, vcc_lo
	v_sub_nc_u32_e32 v4, 0x3f1, v10
	v_add_nc_u32_e32 v10, 0xfffffc10, v10
	v_and_or_b32 v6, 0xffe, v9, v6
	v_med3_i32 v9, v11, 0, 13
	v_or_b32_e32 v11, 0x1000, v2
	v_med3_i32 v4, v4, 0, 13
	v_or_b32_e32 v12, 0x1000, v6
	v_lshrrev_b32_e32 v13, v9, v11
	v_lshrrev_b32_e32 v14, v4, v12
	v_lshlrev_b32_e32 v9, v9, v13
	v_lshlrev_b32_e32 v4, v4, v14
	v_cmp_ne_u32_e32 vcc_lo, v9, v11
	v_lshl_or_b32 v11, v8, 12, v2
	v_cndmask_b32_e64 v9, 0, 1, vcc_lo
	v_cmp_ne_u32_e32 vcc_lo, v4, v12
	v_lshl_or_b32 v12, v10, 12, v6
	v_or_b32_e32 v9, v13, v9
	v_cndmask_b32_e64 v4, 0, 1, vcc_lo
	v_cmp_gt_i32_e32 vcc_lo, 1, v8
	v_or_b32_e32 v4, v14, v4
	v_cndmask_b32_e32 v9, v11, v9, vcc_lo
	v_cmp_gt_i32_e32 vcc_lo, 1, v10
	v_and_b32_e32 v11, 7, v9
	v_cndmask_b32_e32 v4, v12, v4, vcc_lo
	v_cmp_ne_u32_e32 vcc_lo, 0, v2
	v_lshrrev_b32_e32 v9, 2, v9
	v_cmp_eq_u32_e64 s0, 3, v11
	v_and_b32_e32 v12, 7, v4
	v_cndmask_b32_e64 v2, 0, 1, vcc_lo
	v_cmp_ne_u32_e32 vcc_lo, 0, v6
	v_lshrrev_b32_e32 v4, 2, v4
	v_cmp_lt_i32_e64 s1, 5, v12
	v_cmp_eq_u32_e64 s2, 3, v12
	v_cndmask_b32_e64 v6, 0, 1, vcc_lo
	v_cmp_lt_i32_e32 vcc_lo, 5, v11
	v_lshl_or_b32 v2, v2, 9, 0x7c00
	v_lshl_or_b32 v6, v6, 9, 0x7c00
	s_or_b32 vcc_lo, s0, vcc_lo
	v_add_co_ci_u32_e32 v9, vcc_lo, 0, v9, vcc_lo
	s_or_b32 vcc_lo, s2, s1
	v_add_co_ci_u32_e32 v4, vcc_lo, 0, v4, vcc_lo
	v_cmp_gt_i32_e32 vcc_lo, 31, v8
	v_cndmask_b32_e32 v9, 0x7c00, v9, vcc_lo
	v_cmp_gt_i32_e32 vcc_lo, 31, v10
	v_cndmask_b32_e32 v4, 0x7c00, v4, vcc_lo
	v_cmp_eq_u32_e32 vcc_lo, 0x40f, v8
	v_cndmask_b32_e32 v2, v9, v2, vcc_lo
	v_cmp_eq_u32_e32 vcc_lo, 0x40f, v10
	v_and_or_b32 v2, 0x8000, v5, v2
	v_cndmask_b32_e32 v4, v4, v6, vcc_lo
	v_add_co_u32 v0, vcc_lo, v0, s6
	v_add_co_ci_u32_e32 v1, vcc_lo, s7, v1, vcc_lo
	v_and_or_b32 v4, 0x8000, v7, v4
	v_and_b32_e32 v2, 0xffff, v2
	v_lshl_or_b32 v2, v4, 16, v2
	v_lshrrev_b32_e32 v4, 16, v3
	global_store_dword v[0:1], v2, off
	global_load_dword v2, v[24:25], off offset:544
	s_waitcnt vmcnt(0)
	v_mul_f16_sdwa v5, v4, v2 dst_sel:DWORD dst_unused:UNUSED_PAD src0_sel:DWORD src1_sel:WORD_1
	v_mul_f16_sdwa v6, v3, v2 dst_sel:DWORD dst_unused:UNUSED_PAD src0_sel:DWORD src1_sel:WORD_1
	v_fmac_f16_e32 v5, v3, v2
	v_fma_f16 v2, v2, v4, -v6
	v_cvt_f32_f16_e32 v3, v5
	v_cvt_f32_f16_e32 v4, v2
	v_cvt_f64_f32_e32 v[2:3], v3
	v_cvt_f64_f32_e32 v[4:5], v4
	v_mul_f64 v[2:3], v[2:3], s[4:5]
	v_mul_f64 v[4:5], v[4:5], s[4:5]
	v_and_or_b32 v2, 0x1ff, v3, v2
	v_and_or_b32 v4, 0x1ff, v5, v4
	v_lshrrev_b32_e32 v6, 8, v3
	v_bfe_u32 v7, v3, 20, 11
	v_lshrrev_b32_e32 v8, 8, v5
	v_cmp_ne_u32_e32 vcc_lo, 0, v2
	v_bfe_u32 v9, v5, 20, 11
	v_lshrrev_b32_e32 v3, 16, v3
	v_sub_nc_u32_e32 v10, 0x3f1, v7
	v_add_nc_u32_e32 v7, 0xfffffc10, v7
	v_cndmask_b32_e64 v2, 0, 1, vcc_lo
	v_cmp_ne_u32_e32 vcc_lo, 0, v4
	v_lshrrev_b32_e32 v5, 16, v5
	v_and_or_b32 v2, 0xffe, v6, v2
	v_cndmask_b32_e64 v4, 0, 1, vcc_lo
	v_sub_nc_u32_e32 v6, 0x3f1, v9
	v_add_nc_u32_e32 v9, 0xfffffc10, v9
	v_and_or_b32 v4, 0xffe, v8, v4
	v_med3_i32 v8, v10, 0, 13
	v_or_b32_e32 v10, 0x1000, v2
	v_med3_i32 v6, v6, 0, 13
	v_or_b32_e32 v11, 0x1000, v4
	v_lshrrev_b32_e32 v12, v8, v10
	v_lshrrev_b32_e32 v13, v6, v11
	v_lshlrev_b32_e32 v8, v8, v12
	v_lshlrev_b32_e32 v6, v6, v13
	v_cmp_ne_u32_e32 vcc_lo, v8, v10
	v_lshl_or_b32 v10, v7, 12, v2
	v_cndmask_b32_e64 v8, 0, 1, vcc_lo
	v_cmp_ne_u32_e32 vcc_lo, v6, v11
	v_lshl_or_b32 v11, v9, 12, v4
	v_or_b32_e32 v8, v12, v8
	v_cndmask_b32_e64 v6, 0, 1, vcc_lo
	v_cmp_gt_i32_e32 vcc_lo, 1, v7
	v_or_b32_e32 v6, v13, v6
	v_cndmask_b32_e32 v8, v10, v8, vcc_lo
	v_cmp_gt_i32_e32 vcc_lo, 1, v9
	v_and_b32_e32 v10, 7, v8
	v_cndmask_b32_e32 v6, v11, v6, vcc_lo
	v_cmp_ne_u32_e32 vcc_lo, 0, v2
	v_lshrrev_b32_e32 v8, 2, v8
	v_cmp_eq_u32_e64 s0, 3, v10
	v_and_b32_e32 v11, 7, v6
	v_cndmask_b32_e64 v2, 0, 1, vcc_lo
	v_cmp_ne_u32_e32 vcc_lo, 0, v4
	v_lshrrev_b32_e32 v6, 2, v6
	v_cmp_lt_i32_e64 s1, 5, v11
	v_cmp_eq_u32_e64 s2, 3, v11
	v_cndmask_b32_e64 v4, 0, 1, vcc_lo
	v_cmp_lt_i32_e32 vcc_lo, 5, v10
	v_lshl_or_b32 v2, v2, 9, 0x7c00
	v_lshl_or_b32 v4, v4, 9, 0x7c00
	s_or_b32 vcc_lo, s0, vcc_lo
	v_add_co_ci_u32_e32 v8, vcc_lo, 0, v8, vcc_lo
	s_or_b32 vcc_lo, s2, s1
	v_add_co_ci_u32_e32 v6, vcc_lo, 0, v6, vcc_lo
	v_cmp_gt_i32_e32 vcc_lo, 31, v7
	v_cndmask_b32_e32 v8, 0x7c00, v8, vcc_lo
	v_cmp_gt_i32_e32 vcc_lo, 31, v9
	v_cndmask_b32_e32 v6, 0x7c00, v6, vcc_lo
	v_cmp_eq_u32_e32 vcc_lo, 0x40f, v7
	v_cndmask_b32_e32 v2, v8, v2, vcc_lo
	v_cmp_eq_u32_e32 vcc_lo, 0x40f, v9
	v_and_or_b32 v2, 0x8000, v3, v2
	v_cndmask_b32_e32 v4, v6, v4, vcc_lo
	v_add_co_u32 v0, vcc_lo, v0, s6
	v_add_co_ci_u32_e32 v1, vcc_lo, s7, v1, vcc_lo
	v_and_or_b32 v3, 0x8000, v5, v4
	v_and_b32_e32 v2, 0xffff, v2
	v_lshl_or_b32 v2, v3, 16, v2
	global_store_dword v[0:1], v2, off
	global_load_dword v4, v[24:25], off offset:1144
	ds_read2_b32 v[2:3], v33 offset0:30 offset1:180
	s_waitcnt lgkmcnt(0)
	v_lshrrev_b32_e32 v5, 16, v2
	s_waitcnt vmcnt(0)
	v_mul_f16_sdwa v6, v5, v4 dst_sel:DWORD dst_unused:UNUSED_PAD src0_sel:DWORD src1_sel:WORD_1
	v_mul_f16_sdwa v7, v2, v4 dst_sel:DWORD dst_unused:UNUSED_PAD src0_sel:DWORD src1_sel:WORD_1
	v_fmac_f16_e32 v6, v2, v4
	v_fma_f16 v2, v4, v5, -v7
	v_cvt_f32_f16_e32 v4, v6
	v_cvt_f32_f16_e32 v2, v2
	v_cvt_f64_f32_e32 v[4:5], v4
	v_cvt_f64_f32_e32 v[6:7], v2
	v_mul_f64 v[4:5], v[4:5], s[4:5]
	v_mul_f64 v[6:7], v[6:7], s[4:5]
	v_and_or_b32 v2, 0x1ff, v5, v4
	v_and_or_b32 v6, 0x1ff, v7, v6
	v_lshrrev_b32_e32 v4, 8, v5
	v_bfe_u32 v8, v5, 20, 11
	v_lshrrev_b32_e32 v9, 8, v7
	v_cmp_ne_u32_e32 vcc_lo, 0, v2
	v_bfe_u32 v10, v7, 20, 11
	v_lshrrev_b32_e32 v5, 16, v5
	v_sub_nc_u32_e32 v11, 0x3f1, v8
	v_add_nc_u32_e32 v8, 0xfffffc10, v8
	v_cndmask_b32_e64 v2, 0, 1, vcc_lo
	v_cmp_ne_u32_e32 vcc_lo, 0, v6
	v_lshrrev_b32_e32 v7, 16, v7
	v_and_or_b32 v2, 0xffe, v4, v2
	v_cndmask_b32_e64 v6, 0, 1, vcc_lo
	v_sub_nc_u32_e32 v4, 0x3f1, v10
	v_add_nc_u32_e32 v10, 0xfffffc10, v10
	v_and_or_b32 v6, 0xffe, v9, v6
	v_med3_i32 v9, v11, 0, 13
	v_or_b32_e32 v11, 0x1000, v2
	v_med3_i32 v4, v4, 0, 13
	v_or_b32_e32 v12, 0x1000, v6
	v_lshrrev_b32_e32 v13, v9, v11
	v_lshrrev_b32_e32 v14, v4, v12
	v_lshlrev_b32_e32 v9, v9, v13
	v_lshlrev_b32_e32 v4, v4, v14
	v_cmp_ne_u32_e32 vcc_lo, v9, v11
	v_lshl_or_b32 v11, v8, 12, v2
	v_cndmask_b32_e64 v9, 0, 1, vcc_lo
	v_cmp_ne_u32_e32 vcc_lo, v4, v12
	v_lshl_or_b32 v12, v10, 12, v6
	v_or_b32_e32 v9, v13, v9
	v_cndmask_b32_e64 v4, 0, 1, vcc_lo
	v_cmp_gt_i32_e32 vcc_lo, 1, v8
	v_or_b32_e32 v4, v14, v4
	v_cndmask_b32_e32 v9, v11, v9, vcc_lo
	v_cmp_gt_i32_e32 vcc_lo, 1, v10
	v_and_b32_e32 v11, 7, v9
	v_cndmask_b32_e32 v4, v12, v4, vcc_lo
	v_cmp_ne_u32_e32 vcc_lo, 0, v2
	v_lshrrev_b32_e32 v9, 2, v9
	v_cmp_eq_u32_e64 s0, 3, v11
	v_and_b32_e32 v12, 7, v4
	v_cndmask_b32_e64 v2, 0, 1, vcc_lo
	v_cmp_ne_u32_e32 vcc_lo, 0, v6
	v_lshrrev_b32_e32 v4, 2, v4
	v_cmp_lt_i32_e64 s1, 5, v12
	v_cmp_eq_u32_e64 s2, 3, v12
	v_cndmask_b32_e64 v6, 0, 1, vcc_lo
	v_cmp_lt_i32_e32 vcc_lo, 5, v11
	v_lshl_or_b32 v2, v2, 9, 0x7c00
	v_lshl_or_b32 v6, v6, 9, 0x7c00
	s_or_b32 vcc_lo, s0, vcc_lo
	v_add_co_ci_u32_e32 v9, vcc_lo, 0, v9, vcc_lo
	s_or_b32 vcc_lo, s2, s1
	v_add_co_ci_u32_e32 v4, vcc_lo, 0, v4, vcc_lo
	v_cmp_gt_i32_e32 vcc_lo, 31, v8
	v_cndmask_b32_e32 v9, 0x7c00, v9, vcc_lo
	v_cmp_gt_i32_e32 vcc_lo, 31, v10
	v_cndmask_b32_e32 v4, 0x7c00, v4, vcc_lo
	v_cmp_eq_u32_e32 vcc_lo, 0x40f, v8
	v_cndmask_b32_e32 v2, v9, v2, vcc_lo
	v_cmp_eq_u32_e32 vcc_lo, 0x40f, v10
	v_and_or_b32 v2, 0x8000, v5, v2
	v_cndmask_b32_e32 v4, v4, v6, vcc_lo
	v_add_co_u32 v0, vcc_lo, v0, s6
	v_add_co_ci_u32_e32 v1, vcc_lo, s7, v1, vcc_lo
	v_and_or_b32 v4, 0x8000, v7, v4
	v_and_b32_e32 v2, 0xffff, v2
	v_lshl_or_b32 v2, v4, 16, v2
	v_lshrrev_b32_e32 v4, 16, v3
	global_store_dword v[0:1], v2, off
	global_load_dword v2, v[24:25], off offset:1744
	s_waitcnt vmcnt(0)
	v_mul_f16_sdwa v5, v4, v2 dst_sel:DWORD dst_unused:UNUSED_PAD src0_sel:DWORD src1_sel:WORD_1
	v_mul_f16_sdwa v6, v3, v2 dst_sel:DWORD dst_unused:UNUSED_PAD src0_sel:DWORD src1_sel:WORD_1
	v_fmac_f16_e32 v5, v3, v2
	v_fma_f16 v2, v2, v4, -v6
	v_cvt_f32_f16_e32 v3, v5
	v_cvt_f32_f16_e32 v4, v2
	v_cvt_f64_f32_e32 v[2:3], v3
	v_cvt_f64_f32_e32 v[4:5], v4
	v_mul_f64 v[2:3], v[2:3], s[4:5]
	v_mul_f64 v[4:5], v[4:5], s[4:5]
	v_and_or_b32 v2, 0x1ff, v3, v2
	v_and_or_b32 v4, 0x1ff, v5, v4
	v_lshrrev_b32_e32 v6, 8, v3
	v_bfe_u32 v7, v3, 20, 11
	v_lshrrev_b32_e32 v8, 8, v5
	v_cmp_ne_u32_e32 vcc_lo, 0, v2
	v_bfe_u32 v9, v5, 20, 11
	v_lshrrev_b32_e32 v3, 16, v3
	v_sub_nc_u32_e32 v10, 0x3f1, v7
	v_add_nc_u32_e32 v7, 0xfffffc10, v7
	v_cndmask_b32_e64 v2, 0, 1, vcc_lo
	v_cmp_ne_u32_e32 vcc_lo, 0, v4
	v_lshrrev_b32_e32 v5, 16, v5
	v_and_or_b32 v2, 0xffe, v6, v2
	v_cndmask_b32_e64 v4, 0, 1, vcc_lo
	v_sub_nc_u32_e32 v6, 0x3f1, v9
	v_add_nc_u32_e32 v9, 0xfffffc10, v9
	v_and_or_b32 v4, 0xffe, v8, v4
	v_med3_i32 v8, v10, 0, 13
	v_or_b32_e32 v10, 0x1000, v2
	v_med3_i32 v6, v6, 0, 13
	v_or_b32_e32 v11, 0x1000, v4
	v_lshrrev_b32_e32 v12, v8, v10
	v_lshrrev_b32_e32 v13, v6, v11
	v_lshlrev_b32_e32 v8, v8, v12
	v_lshlrev_b32_e32 v6, v6, v13
	v_cmp_ne_u32_e32 vcc_lo, v8, v10
	v_lshl_or_b32 v10, v7, 12, v2
	v_cndmask_b32_e64 v8, 0, 1, vcc_lo
	v_cmp_ne_u32_e32 vcc_lo, v6, v11
	v_lshl_or_b32 v11, v9, 12, v4
	v_or_b32_e32 v8, v12, v8
	v_cndmask_b32_e64 v6, 0, 1, vcc_lo
	v_cmp_gt_i32_e32 vcc_lo, 1, v7
	v_or_b32_e32 v6, v13, v6
	v_cndmask_b32_e32 v8, v10, v8, vcc_lo
	v_cmp_gt_i32_e32 vcc_lo, 1, v9
	v_and_b32_e32 v10, 7, v8
	v_cndmask_b32_e32 v6, v11, v6, vcc_lo
	v_cmp_ne_u32_e32 vcc_lo, 0, v2
	v_lshrrev_b32_e32 v8, 2, v8
	v_cmp_eq_u32_e64 s0, 3, v10
	v_and_b32_e32 v11, 7, v6
	v_cndmask_b32_e64 v2, 0, 1, vcc_lo
	v_cmp_ne_u32_e32 vcc_lo, 0, v4
	v_lshrrev_b32_e32 v6, 2, v6
	v_cmp_lt_i32_e64 s1, 5, v11
	v_cmp_eq_u32_e64 s2, 3, v11
	v_cndmask_b32_e64 v4, 0, 1, vcc_lo
	v_cmp_lt_i32_e32 vcc_lo, 5, v10
	v_lshl_or_b32 v2, v2, 9, 0x7c00
	v_lshl_or_b32 v4, v4, 9, 0x7c00
	s_or_b32 vcc_lo, s0, vcc_lo
	v_add_co_ci_u32_e32 v8, vcc_lo, 0, v8, vcc_lo
	s_or_b32 vcc_lo, s2, s1
	v_add_co_ci_u32_e32 v6, vcc_lo, 0, v6, vcc_lo
	v_cmp_gt_i32_e32 vcc_lo, 31, v7
	v_cndmask_b32_e32 v8, 0x7c00, v8, vcc_lo
	v_cmp_gt_i32_e32 vcc_lo, 31, v9
	v_cndmask_b32_e32 v6, 0x7c00, v6, vcc_lo
	v_cmp_eq_u32_e32 vcc_lo, 0x40f, v7
	v_cndmask_b32_e32 v2, v8, v2, vcc_lo
	v_cmp_eq_u32_e32 vcc_lo, 0x40f, v9
	v_and_or_b32 v2, 0x8000, v3, v2
	v_cndmask_b32_e32 v4, v6, v4, vcc_lo
	v_add_co_u32 v0, vcc_lo, v0, s6
	v_add_co_ci_u32_e32 v1, vcc_lo, s7, v1, vcc_lo
	v_and_or_b32 v3, 0x8000, v5, v4
	v_and_b32_e32 v2, 0xffff, v2
	v_lshl_or_b32 v2, v3, 16, v2
	ds_read_b32 v3, v63 offset:6440
	global_store_dword v[0:1], v2, off
	global_load_dword v2, v[31:32], off offset:296
	s_waitcnt lgkmcnt(0)
	v_lshrrev_b32_e32 v4, 16, v3
	s_waitcnt vmcnt(0)
	v_mul_f16_sdwa v5, v4, v2 dst_sel:DWORD dst_unused:UNUSED_PAD src0_sel:DWORD src1_sel:WORD_1
	v_mul_f16_sdwa v6, v3, v2 dst_sel:DWORD dst_unused:UNUSED_PAD src0_sel:DWORD src1_sel:WORD_1
	v_fmac_f16_e32 v5, v3, v2
	v_fma_f16 v2, v2, v4, -v6
	v_cvt_f32_f16_e32 v3, v5
	v_cvt_f32_f16_e32 v4, v2
	v_cvt_f64_f32_e32 v[2:3], v3
	v_cvt_f64_f32_e32 v[4:5], v4
	v_mul_f64 v[2:3], v[2:3], s[4:5]
	v_mul_f64 v[4:5], v[4:5], s[4:5]
	v_and_or_b32 v2, 0x1ff, v3, v2
	v_and_or_b32 v4, 0x1ff, v5, v4
	v_lshrrev_b32_e32 v6, 8, v3
	v_bfe_u32 v7, v3, 20, 11
	v_lshrrev_b32_e32 v8, 8, v5
	v_cmp_ne_u32_e32 vcc_lo, 0, v2
	v_bfe_u32 v9, v5, 20, 11
	v_lshrrev_b32_e32 v3, 16, v3
	v_sub_nc_u32_e32 v10, 0x3f1, v7
	v_add_nc_u32_e32 v7, 0xfffffc10, v7
	v_cndmask_b32_e64 v2, 0, 1, vcc_lo
	v_cmp_ne_u32_e32 vcc_lo, 0, v4
	v_lshrrev_b32_e32 v5, 16, v5
	v_and_or_b32 v2, 0xffe, v6, v2
	v_cndmask_b32_e64 v4, 0, 1, vcc_lo
	v_sub_nc_u32_e32 v6, 0x3f1, v9
	v_add_nc_u32_e32 v9, 0xfffffc10, v9
	v_and_or_b32 v4, 0xffe, v8, v4
	v_med3_i32 v8, v10, 0, 13
	v_or_b32_e32 v10, 0x1000, v2
	v_med3_i32 v6, v6, 0, 13
	v_or_b32_e32 v11, 0x1000, v4
	v_lshrrev_b32_e32 v12, v8, v10
	v_lshrrev_b32_e32 v13, v6, v11
	v_lshlrev_b32_e32 v8, v8, v12
	v_lshlrev_b32_e32 v6, v6, v13
	v_cmp_ne_u32_e32 vcc_lo, v8, v10
	v_lshl_or_b32 v10, v7, 12, v2
	v_cndmask_b32_e64 v8, 0, 1, vcc_lo
	v_cmp_ne_u32_e32 vcc_lo, v6, v11
	v_lshl_or_b32 v11, v9, 12, v4
	v_or_b32_e32 v8, v12, v8
	v_cndmask_b32_e64 v6, 0, 1, vcc_lo
	v_cmp_gt_i32_e32 vcc_lo, 1, v7
	v_or_b32_e32 v6, v13, v6
	v_cndmask_b32_e32 v8, v10, v8, vcc_lo
	v_cmp_gt_i32_e32 vcc_lo, 1, v9
	v_and_b32_e32 v10, 7, v8
	v_cndmask_b32_e32 v6, v11, v6, vcc_lo
	v_cmp_ne_u32_e32 vcc_lo, 0, v2
	v_lshrrev_b32_e32 v8, 2, v8
	v_cmp_eq_u32_e64 s0, 3, v10
	v_and_b32_e32 v11, 7, v6
	v_cndmask_b32_e64 v2, 0, 1, vcc_lo
	v_cmp_ne_u32_e32 vcc_lo, 0, v4
	v_lshrrev_b32_e32 v6, 2, v6
	v_cmp_lt_i32_e64 s1, 5, v11
	v_cmp_eq_u32_e64 s2, 3, v11
	v_cndmask_b32_e64 v4, 0, 1, vcc_lo
	v_cmp_lt_i32_e32 vcc_lo, 5, v10
	v_lshl_or_b32 v2, v2, 9, 0x7c00
	v_lshl_or_b32 v4, v4, 9, 0x7c00
	s_or_b32 vcc_lo, s0, vcc_lo
	v_add_co_ci_u32_e32 v8, vcc_lo, 0, v8, vcc_lo
	s_or_b32 vcc_lo, s2, s1
	v_add_co_ci_u32_e32 v6, vcc_lo, 0, v6, vcc_lo
	v_cmp_gt_i32_e32 vcc_lo, 31, v7
	v_cndmask_b32_e32 v8, 0x7c00, v8, vcc_lo
	v_cmp_gt_i32_e32 vcc_lo, 31, v9
	v_cndmask_b32_e32 v6, 0x7c00, v6, vcc_lo
	v_cmp_eq_u32_e32 vcc_lo, 0x40f, v7
	v_cndmask_b32_e32 v2, v8, v2, vcc_lo
	v_cmp_eq_u32_e32 vcc_lo, 0x40f, v9
	v_and_or_b32 v2, 0x8000, v3, v2
	v_cndmask_b32_e32 v4, v6, v4, vcc_lo
	v_add_co_u32 v0, vcc_lo, v0, s6
	v_add_co_ci_u32_e32 v1, vcc_lo, s7, v1, vcc_lo
	v_and_or_b32 v3, 0x8000, v5, v4
	v_and_b32_e32 v2, 0xffff, v2
	v_lshl_or_b32 v2, v3, 16, v2
	global_store_dword v[0:1], v2, off
.LBB0_23:
	s_endpgm
	.section	.rodata,"a",@progbits
	.p2align	6, 0x0
	.amdhsa_kernel bluestein_single_back_len1650_dim1_half_op_CI_CI
		.amdhsa_group_segment_fixed_size 6600
		.amdhsa_private_segment_fixed_size 0
		.amdhsa_kernarg_size 104
		.amdhsa_user_sgpr_count 6
		.amdhsa_user_sgpr_private_segment_buffer 1
		.amdhsa_user_sgpr_dispatch_ptr 0
		.amdhsa_user_sgpr_queue_ptr 0
		.amdhsa_user_sgpr_kernarg_segment_ptr 1
		.amdhsa_user_sgpr_dispatch_id 0
		.amdhsa_user_sgpr_flat_scratch_init 0
		.amdhsa_user_sgpr_private_segment_size 0
		.amdhsa_wavefront_size32 1
		.amdhsa_uses_dynamic_stack 0
		.amdhsa_system_sgpr_private_segment_wavefront_offset 0
		.amdhsa_system_sgpr_workgroup_id_x 1
		.amdhsa_system_sgpr_workgroup_id_y 0
		.amdhsa_system_sgpr_workgroup_id_z 0
		.amdhsa_system_sgpr_workgroup_info 0
		.amdhsa_system_vgpr_workitem_id 0
		.amdhsa_next_free_vgpr 195
		.amdhsa_next_free_sgpr 16
		.amdhsa_reserve_vcc 1
		.amdhsa_reserve_flat_scratch 0
		.amdhsa_float_round_mode_32 0
		.amdhsa_float_round_mode_16_64 0
		.amdhsa_float_denorm_mode_32 3
		.amdhsa_float_denorm_mode_16_64 3
		.amdhsa_dx10_clamp 1
		.amdhsa_ieee_mode 1
		.amdhsa_fp16_overflow 0
		.amdhsa_workgroup_processor_mode 1
		.amdhsa_memory_ordered 1
		.amdhsa_forward_progress 0
		.amdhsa_shared_vgpr_count 0
		.amdhsa_exception_fp_ieee_invalid_op 0
		.amdhsa_exception_fp_denorm_src 0
		.amdhsa_exception_fp_ieee_div_zero 0
		.amdhsa_exception_fp_ieee_overflow 0
		.amdhsa_exception_fp_ieee_underflow 0
		.amdhsa_exception_fp_ieee_inexact 0
		.amdhsa_exception_int_div_zero 0
	.end_amdhsa_kernel
	.text
.Lfunc_end0:
	.size	bluestein_single_back_len1650_dim1_half_op_CI_CI, .Lfunc_end0-bluestein_single_back_len1650_dim1_half_op_CI_CI
                                        ; -- End function
	.section	.AMDGPU.csdata,"",@progbits
; Kernel info:
; codeLenInByte = 38460
; NumSgprs: 18
; NumVgprs: 195
; ScratchSize: 0
; MemoryBound: 0
; FloatMode: 240
; IeeeMode: 1
; LDSByteSize: 6600 bytes/workgroup (compile time only)
; SGPRBlocks: 2
; VGPRBlocks: 24
; NumSGPRsForWavesPerEU: 18
; NumVGPRsForWavesPerEU: 195
; Occupancy: 4
; WaveLimiterHint : 1
; COMPUTE_PGM_RSRC2:SCRATCH_EN: 0
; COMPUTE_PGM_RSRC2:USER_SGPR: 6
; COMPUTE_PGM_RSRC2:TRAP_HANDLER: 0
; COMPUTE_PGM_RSRC2:TGID_X_EN: 1
; COMPUTE_PGM_RSRC2:TGID_Y_EN: 0
; COMPUTE_PGM_RSRC2:TGID_Z_EN: 0
; COMPUTE_PGM_RSRC2:TIDIG_COMP_CNT: 0
	.text
	.p2alignl 6, 3214868480
	.fill 48, 4, 3214868480
	.type	__hip_cuid_2e8d09bc0a8e4c36,@object ; @__hip_cuid_2e8d09bc0a8e4c36
	.section	.bss,"aw",@nobits
	.globl	__hip_cuid_2e8d09bc0a8e4c36
__hip_cuid_2e8d09bc0a8e4c36:
	.byte	0                               ; 0x0
	.size	__hip_cuid_2e8d09bc0a8e4c36, 1

	.ident	"AMD clang version 19.0.0git (https://github.com/RadeonOpenCompute/llvm-project roc-6.4.0 25133 c7fe45cf4b819c5991fe208aaa96edf142730f1d)"
	.section	".note.GNU-stack","",@progbits
	.addrsig
	.addrsig_sym __hip_cuid_2e8d09bc0a8e4c36
	.amdgpu_metadata
---
amdhsa.kernels:
  - .args:
      - .actual_access:  read_only
        .address_space:  global
        .offset:         0
        .size:           8
        .value_kind:     global_buffer
      - .actual_access:  read_only
        .address_space:  global
        .offset:         8
        .size:           8
        .value_kind:     global_buffer
      - .actual_access:  read_only
        .address_space:  global
        .offset:         16
        .size:           8
        .value_kind:     global_buffer
      - .actual_access:  read_only
        .address_space:  global
        .offset:         24
        .size:           8
        .value_kind:     global_buffer
      - .actual_access:  read_only
        .address_space:  global
        .offset:         32
        .size:           8
        .value_kind:     global_buffer
      - .offset:         40
        .size:           8
        .value_kind:     by_value
      - .address_space:  global
        .offset:         48
        .size:           8
        .value_kind:     global_buffer
      - .address_space:  global
        .offset:         56
        .size:           8
        .value_kind:     global_buffer
      - .address_space:  global
        .offset:         64
        .size:           8
        .value_kind:     global_buffer
      - .address_space:  global
        .offset:         72
        .size:           8
        .value_kind:     global_buffer
      - .offset:         80
        .size:           4
        .value_kind:     by_value
      - .address_space:  global
        .offset:         88
        .size:           8
        .value_kind:     global_buffer
      - .address_space:  global
        .offset:         96
        .size:           8
        .value_kind:     global_buffer
    .group_segment_fixed_size: 6600
    .kernarg_segment_align: 8
    .kernarg_segment_size: 104
    .language:       OpenCL C
    .language_version:
      - 2
      - 0
    .max_flat_workgroup_size: 110
    .name:           bluestein_single_back_len1650_dim1_half_op_CI_CI
    .private_segment_fixed_size: 0
    .sgpr_count:     18
    .sgpr_spill_count: 0
    .symbol:         bluestein_single_back_len1650_dim1_half_op_CI_CI.kd
    .uniform_work_group_size: 1
    .uses_dynamic_stack: false
    .vgpr_count:     195
    .vgpr_spill_count: 0
    .wavefront_size: 32
    .workgroup_processor_mode: 1
amdhsa.target:   amdgcn-amd-amdhsa--gfx1030
amdhsa.version:
  - 1
  - 2
...

	.end_amdgpu_metadata
